;; amdgpu-corpus repo=ROCm/rocFFT kind=compiled arch=gfx950 opt=O3
	.text
	.amdgcn_target "amdgcn-amd-amdhsa--gfx950"
	.amdhsa_code_object_version 6
	.protected	bluestein_single_fwd_len3125_dim1_half_op_CI_CI ; -- Begin function bluestein_single_fwd_len3125_dim1_half_op_CI_CI
	.globl	bluestein_single_fwd_len3125_dim1_half_op_CI_CI
	.p2align	8
	.type	bluestein_single_fwd_len3125_dim1_half_op_CI_CI,@function
bluestein_single_fwd_len3125_dim1_half_op_CI_CI: ; @bluestein_single_fwd_len3125_dim1_half_op_CI_CI
; %bb.0:
	s_load_dwordx4 s[4:7], s[0:1], 0x28
	v_mul_u32_u24_e32 v1, 0x20d, v0
	v_add_u32_sdwa v76, s2, v1 dst_sel:DWORD dst_unused:UNUSED_PAD src0_sel:DWORD src1_sel:WORD_1
	v_mov_b32_e32 v77, 0
	s_waitcnt lgkmcnt(0)
	v_cmp_gt_u64_e32 vcc, s[4:5], v[76:77]
	s_and_saveexec_b64 s[2:3], vcc
	s_cbranch_execz .LBB0_2
; %bb.1:
	s_load_dwordx4 s[12:15], s[0:1], 0x18
	s_load_dwordx4 s[8:11], s[0:1], 0x0
	v_mov_b32_e32 v2, s6
	v_mov_b32_e32 v3, s7
	s_movk_i32 s16, 0x7d
	s_waitcnt lgkmcnt(0)
	s_load_dwordx4 s[4:7], s[14:15], 0x0
	v_mul_lo_u16_sdwa v1, v1, s16 dst_sel:DWORD dst_unused:UNUSED_PAD src0_sel:WORD_1 src1_sel:DWORD
	s_load_dwordx4 s[12:15], s[12:13], 0x0
	v_sub_u16_e32 v80, v0, v1
	v_mov_b32_e32 v100, 0xffffdae4
	s_waitcnt lgkmcnt(0)
	v_mad_u64_u32 v[78:79], s[2:3], s6, v76, 0
	v_mov_b32_e32 v0, v79
	v_mad_u64_u32 v[82:83], s[2:3], s7, v76, v[0:1]
	v_mad_u64_u32 v[0:1], s[2:3], s14, v76, 0
	v_mov_b32_e32 v4, v1
	v_mad_u64_u32 v[4:5], s[2:3], s15, v76, v[4:5]
	v_mov_b32_e32 v1, v4
	;; [unrolled: 2-line block ×4, first 2 shown]
	v_lshl_add_u64 v[0:1], v[0:1], 2, v[2:3]
	v_lshl_add_u64 v[0:1], v[4:5], 2, v[0:1]
	v_mov_b32_e32 v83, 0x9c4
	global_load_dword v6, v[0:1], off
	v_lshlrev_b32_e32 v76, 2, v80
	v_mad_u64_u32 v[0:1], s[2:3], s12, v83, v[0:1]
	global_load_dword v132, v76, s[8:9]
	s_mul_i32 s2, s13, 0x9c4
	v_add_u32_e32 v1, s2, v1
	global_load_dword v7, v[0:1], off
	global_load_dword v130, v76, s[8:9] offset:2500
	v_lshl_add_u64 v[84:85], s[8:9], 0, v[76:77]
	v_mad_u64_u32 v[0:1], s[6:7], s12, v83, v[0:1]
	s_movk_i32 s3, 0x1000
	v_add_u32_e32 v1, s2, v1
	v_add_co_u32_e32 v2, vcc, s3, v84
	global_load_dword v8, v[0:1], off
	s_nop 0
	v_addc_co_u32_e32 v3, vcc, 0, v85, vcc
	global_load_dword v128, v[2:3], off offset:904
	v_mad_u64_u32 v[0:1], s[6:7], s12, v83, v[0:1]
	v_add_u32_e32 v1, s2, v1
	global_load_dword v9, v[0:1], off
	global_load_dword v126, v[2:3], off offset:3404
	v_mad_u64_u32 v[4:5], s[6:7], s12, v83, v[0:1]
	s_movk_i32 s3, 0x2000
	v_add_u32_e32 v5, s2, v5
	v_add_co_u32_e32 v0, vcc, s3, v84
	global_load_dword v10, v[4:5], off
	s_nop 0
	v_addc_co_u32_e32 v1, vcc, 0, v85, vcc
	global_load_dword v125, v[0:1], off offset:1808
	s_mul_i32 s3, s13, 0xffffdae4
	s_sub_i32 s3, s3, s12
	v_mad_u64_u32 v[4:5], s[6:7], s12, v100, v[4:5]
	v_add_u32_e32 v5, s3, v5
	global_load_dword v11, v[4:5], off
	global_load_dword v121, v76, s[8:9] offset:500
	global_load_dword v119, v76, s[8:9] offset:3000
	;; [unrolled: 1-line block ×5, first 2 shown]
	v_mad_u64_u32 v[4:5], s[6:7], s12, v83, v[4:5]
	v_add_u32_e32 v5, s2, v5
	global_load_dword v12, v[4:5], off
	global_load_dword v105, v76, s[8:9] offset:2000
	global_load_dword v123, v[2:3], off offset:1404
	v_mad_u64_u32 v[4:5], s[6:7], s12, v83, v[4:5]
	v_add_u32_e32 v5, s2, v5
	global_load_dword v13, v[4:5], off
	global_load_dword v120, v[2:3], off offset:3904
	v_mad_u64_u32 v[4:5], s[6:7], s12, v83, v[4:5]
	v_add_u32_e32 v5, s2, v5
	global_load_dword v14, v[4:5], off
	v_mad_u64_u32 v[4:5], s[6:7], s12, v83, v[4:5]
	v_add_u32_e32 v5, s2, v5
	v_add_u32_e32 v131, 0xa00, v76
	;; [unrolled: 1-line block ×14, first 2 shown]
	v_mul_lo_u16_e32 v36, 5, v80
	v_lshlrev_b32_e32 v140, 2, v36
	v_add_u32_e32 v129, 0x1600, v76
	v_add_u32_e32 v124, 0x2a00, v76
	s_load_dwordx2 s[0:1], s[0:1], 0x38
	s_waitcnt vmcnt(21)
	v_lshrrev_b32_e32 v15, 16, v6
	s_waitcnt vmcnt(20)
	v_mul_f16_sdwa v16, v132, v6 dst_sel:DWORD dst_unused:UNUSED_PAD src0_sel:WORD_1 src1_sel:DWORD
	v_mul_f16_sdwa v17, v132, v15 dst_sel:DWORD dst_unused:UNUSED_PAD src0_sel:WORD_1 src1_sel:DWORD
	v_fma_f16 v15, v132, v15, -v16
	v_fma_f16 v6, v132, v6, v17
	s_waitcnt vmcnt(19)
	v_lshrrev_b32_e32 v16, 16, v7
	s_waitcnt vmcnt(18)
	v_mul_f16_sdwa v17, v130, v7 dst_sel:DWORD dst_unused:UNUSED_PAD src0_sel:WORD_1 src1_sel:DWORD
	v_pack_b32_f16 v6, v6, v15
	v_mul_f16_sdwa v15, v130, v16 dst_sel:DWORD dst_unused:UNUSED_PAD src0_sel:WORD_1 src1_sel:DWORD
	v_fma_f16 v7, v130, v7, v15
	v_fma_f16 v15, v130, v16, -v17
	global_load_dword v16, v[4:5], off
	global_load_dword v118, v[0:1], off offset:2308
	v_pack_b32_f16 v7, v7, v15
	ds_write_b32 v76, v7 offset:2500
	s_waitcnt vmcnt(19)
	v_lshrrev_b32_e32 v7, 16, v8
	global_load_dword v116, v[2:3], off offset:1904
	global_load_dword v108, v[2:3], off offset:2404
	;; [unrolled: 1-line block ×4, first 2 shown]
	s_waitcnt vmcnt(22)
	v_mul_f16_sdwa v2, v128, v7 dst_sel:DWORD dst_unused:UNUSED_PAD src0_sel:WORD_1 src1_sel:DWORD
	v_fma_f16 v15, v128, v8, v2
	v_mad_u64_u32 v[2:3], s[6:7], s12, v100, v[4:5]
	v_add_u32_e32 v3, s3, v3
	global_load_dword v4, v[2:3], off
	v_mul_f16_sdwa v8, v128, v8 dst_sel:DWORD dst_unused:UNUSED_PAD src0_sel:WORD_1 src1_sel:DWORD
	v_fma_f16 v5, v128, v7, -v8
	v_pack_b32_f16 v5, v15, v5
	ds_write_b32 v76, v5 offset:5000
	s_waitcnt vmcnt(22)
	v_lshrrev_b32_e32 v5, 16, v9
	s_waitcnt vmcnt(21)
	v_mul_f16_sdwa v7, v126, v5 dst_sel:DWORD dst_unused:UNUSED_PAD src0_sel:WORD_1 src1_sel:DWORD
	v_mul_f16_sdwa v8, v126, v9 dst_sel:DWORD dst_unused:UNUSED_PAD src0_sel:WORD_1 src1_sel:DWORD
	v_fma_f16 v7, v126, v9, v7
	v_fma_f16 v5, v126, v5, -v8
	v_pack_b32_f16 v5, v7, v5
	v_mad_u64_u32 v[2:3], s[6:7], s12, v83, v[2:3]
	ds_write_b32 v76, v5 offset:7500
	v_add_u32_e32 v3, s2, v3
	global_load_dword v7, v[2:3], off
	global_load_dword v115, v[0:1], off offset:308
	global_load_dword v107, v[0:1], off offset:808
	global_load_dword v112, v[0:1], off offset:2808
	global_load_dword v106, v[0:1], off offset:3308
	global_load_dword v101, v[0:1], off offset:3808
	global_load_dword v102, v[0:1], off offset:1308
	s_waitcnt vmcnt(27)
	v_lshrrev_b32_e32 v5, 16, v10
	s_waitcnt vmcnt(26)
	v_mul_f16_sdwa v0, v125, v5 dst_sel:DWORD dst_unused:UNUSED_PAD src0_sel:WORD_1 src1_sel:DWORD
	v_mul_f16_sdwa v1, v125, v10 dst_sel:DWORD dst_unused:UNUSED_PAD src0_sel:WORD_1 src1_sel:DWORD
	v_fma_f16 v0, v125, v10, v0
	v_fma_f16 v1, v125, v5, -v1
	v_pack_b32_f16 v0, v0, v1
	ds_write_b32 v76, v0 offset:10000
	s_waitcnt vmcnt(25)
	v_lshrrev_b32_e32 v0, 16, v11
	s_waitcnt vmcnt(24)
	v_mul_f16_sdwa v1, v121, v0 dst_sel:DWORD dst_unused:UNUSED_PAD src0_sel:WORD_1 src1_sel:DWORD
	v_mul_f16_sdwa v5, v121, v11 dst_sel:DWORD dst_unused:UNUSED_PAD src0_sel:WORD_1 src1_sel:DWORD
	v_fma_f16 v1, v121, v11, v1
	v_fma_f16 v0, v121, v0, -v5
	v_pack_b32_f16 v0, v1, v0
	ds_write2_b32 v76, v6, v0 offset1:125
	v_mad_u64_u32 v[0:1], s[6:7], s12, v83, v[2:3]
	s_waitcnt vmcnt(19)
	v_lshrrev_b32_e32 v3, 16, v12
	v_add_u32_e32 v1, s2, v1
	v_mul_f16_sdwa v5, v119, v3 dst_sel:DWORD dst_unused:UNUSED_PAD src0_sel:WORD_1 src1_sel:DWORD
	v_mul_f16_sdwa v6, v119, v12 dst_sel:DWORD dst_unused:UNUSED_PAD src0_sel:WORD_1 src1_sel:DWORD
	global_load_dword v2, v[0:1], off
	v_fma_f16 v5, v119, v12, v5
	v_fma_f16 v3, v119, v3, -v6
	v_pack_b32_f16 v3, v5, v3
	s_waitcnt vmcnt(17)
	v_lshrrev_b32_e32 v5, 16, v13
	v_mul_f16_sdwa v6, v123, v5 dst_sel:DWORD dst_unused:UNUSED_PAD src0_sel:WORD_1 src1_sel:DWORD
	v_mul_f16_sdwa v8, v123, v13 dst_sel:DWORD dst_unused:UNUSED_PAD src0_sel:WORD_1 src1_sel:DWORD
	v_mad_u64_u32 v[0:1], s[6:7], s12, v83, v[0:1]
	v_fma_f16 v6, v123, v13, v6
	v_fma_f16 v5, v123, v5, -v8
	v_add_u32_e32 v1, s2, v1
	v_pack_b32_f16 v5, v6, v5
	global_load_dword v6, v[0:1], off
	v_mad_u64_u32 v[0:1], s[6:7], s12, v83, v[0:1]
	v_add_u32_e32 v1, s2, v1
	global_load_dword v11, v[0:1], off
	v_mad_u64_u32 v[0:1], s[6:7], s12, v100, v[0:1]
	s_waitcnt vmcnt(17)
	v_lshrrev_b32_e32 v8, 16, v14
	v_add_u32_e32 v1, s3, v1
	v_mul_f16_sdwa v9, v120, v8 dst_sel:DWORD dst_unused:UNUSED_PAD src0_sel:WORD_1 src1_sel:DWORD
	v_mul_f16_sdwa v10, v120, v14 dst_sel:DWORD dst_unused:UNUSED_PAD src0_sel:WORD_1 src1_sel:DWORD
	global_load_dword v12, v[0:1], off
	v_fma_f16 v9, v120, v14, v9
	v_fma_f16 v8, v120, v8, -v10
	v_pack_b32_f16 v8, v9, v8
	v_mad_u64_u32 v[0:1], s[6:7], s12, v83, v[0:1]
	v_add_u32_e32 v1, s2, v1
	s_waitcnt vmcnt(17)
	v_lshrrev_b32_e32 v9, 16, v16
	s_waitcnt vmcnt(16)
	v_mul_f16_sdwa v10, v118, v9 dst_sel:DWORD dst_unused:UNUSED_PAD src0_sel:WORD_1 src1_sel:DWORD
	v_mul_f16_sdwa v13, v118, v16 dst_sel:DWORD dst_unused:UNUSED_PAD src0_sel:WORD_1 src1_sel:DWORD
	v_fma_f16 v10, v118, v16, v10
	v_fma_f16 v9, v118, v9, -v13
	v_pack_b32_f16 v9, v10, v9
	global_load_dword v10, v[0:1], off
	global_load_dword v111, v76, s[8:9] offset:4000
	v_mad_u64_u32 v[0:1], s[6:7], s12, v83, v[0:1]
	v_add_u32_e32 v1, s2, v1
	global_load_dword v14, v[0:1], off
	v_mad_u64_u32 v[0:1], s[6:7], s12, v83, v[0:1]
	v_add_u32_e32 v1, s2, v1
	s_waitcnt vmcnt(14)
	v_lshrrev_b32_e32 v13, 16, v4
	global_load_dword v16, v[0:1], off
	v_mul_f16_sdwa v15, v117, v13 dst_sel:DWORD dst_unused:UNUSED_PAD src0_sel:WORD_1 src1_sel:DWORD
	v_mad_u64_u32 v[0:1], s[6:7], s12, v83, v[0:1]
	v_fma_f16 v15, v117, v4, v15
	v_mul_f16_sdwa v4, v117, v4 dst_sel:DWORD dst_unused:UNUSED_PAD src0_sel:WORD_1 src1_sel:DWORD
	v_add_u32_e32 v1, s2, v1
	v_fma_f16 v4, v117, v13, -v4
	global_load_dword v13, v[0:1], off
	v_mad_u64_u32 v[0:1], s[6:7], s12, v100, v[0:1]
	v_add_u32_e32 v1, s3, v1
	global_load_dword v17, v[0:1], off
	v_mad_u64_u32 v[0:1], s[6:7], s12, v83, v[0:1]
	v_pack_b32_f16 v4, v15, v4
	s_waitcnt vmcnt(16)
	v_lshrrev_b32_e32 v15, 16, v7
	v_add_u32_e32 v1, s2, v1
	v_mul_f16_sdwa v18, v114, v15 dst_sel:DWORD dst_unused:UNUSED_PAD src0_sel:WORD_1 src1_sel:DWORD
	global_load_dword v19, v[0:1], off
	v_fma_f16 v18, v114, v7, v18
	v_mul_f16_sdwa v7, v114, v7 dst_sel:DWORD dst_unused:UNUSED_PAD src0_sel:WORD_1 src1_sel:DWORD
	v_fma_f16 v7, v114, v15, -v7
	v_mad_u64_u32 v[0:1], s[6:7], s12, v83, v[0:1]
	v_pack_b32_f16 v7, v18, v7
	v_add_u32_e32 v1, s2, v1
	ds_write2_b32 v131, v3, v7 offset0:110 offset1:235
	global_load_dword v3, v[0:1], off
	v_mad_u64_u32 v[0:1], s[6:7], s12, v83, v[0:1]
	v_add_u32_e32 v1, s2, v1
	global_load_dword v18, v[0:1], off
	v_mad_u64_u32 v[0:1], s[6:7], s12, v83, v[0:1]
	v_add_u32_e32 v1, s2, v1
	global_load_dword v0, v[0:1], off
	s_waitcnt vmcnt(13)
	v_lshrrev_b32_e32 v7, 16, v2
	v_mul_f16_sdwa v15, v116, v7 dst_sel:DWORD dst_unused:UNUSED_PAD src0_sel:WORD_1 src1_sel:DWORD
	v_fma_f16 v15, v116, v2, v15
	v_mul_f16_sdwa v2, v116, v2 dst_sel:DWORD dst_unused:UNUSED_PAD src0_sel:WORD_1 src1_sel:DWORD
	v_fma_f16 v2, v116, v7, -v2
	v_pack_b32_f16 v2, v15, v2
	ds_write2_b32 v139, v5, v2 offset0:95 offset1:220
	s_movk_i32 s2, 0x3b9c
	s_waitcnt vmcnt(12)
	v_lshrrev_b32_e32 v1, 16, v6
	v_mul_f16_sdwa v2, v115, v1 dst_sel:DWORD dst_unused:UNUSED_PAD src0_sel:WORD_1 src1_sel:DWORD
	v_mul_f16_sdwa v5, v115, v6 dst_sel:DWORD dst_unused:UNUSED_PAD src0_sel:WORD_1 src1_sel:DWORD
	v_fma_f16 v2, v115, v6, v2
	v_fma_f16 v1, v115, v1, -v5
	v_pack_b32_f16 v1, v2, v1
	ds_write2_b32 v127, v8, v1 offset0:80 offset1:205
	s_waitcnt vmcnt(11)
	v_lshrrev_b32_e32 v1, 16, v11
	v_mul_f16_sdwa v2, v112, v1 dst_sel:DWORD dst_unused:UNUSED_PAD src0_sel:WORD_1 src1_sel:DWORD
	v_mul_f16_sdwa v5, v112, v11 dst_sel:DWORD dst_unused:UNUSED_PAD src0_sel:WORD_1 src1_sel:DWORD
	v_fma_f16 v2, v112, v11, v2
	v_fma_f16 v1, v112, v1, -v5
	v_pack_b32_f16 v1, v2, v1
	ds_write2_b32 v138, v9, v1 offset0:65 offset1:190
	;; [unrolled: 8-line block ×3, first 2 shown]
	s_mov_b32 s8, 0xbb9c
	s_movk_i32 s3, 0x38b4
	s_mov_b32 s7, 0xb8b4
	s_movk_i32 s6, 0x34f2
	s_waitcnt vmcnt(9)
	v_lshrrev_b32_e32 v1, 16, v10
	s_waitcnt vmcnt(8)
	v_mul_f16_sdwa v2, v111, v1 dst_sel:DWORD dst_unused:UNUSED_PAD src0_sel:WORD_1 src1_sel:DWORD
	v_mul_f16_sdwa v4, v111, v10 dst_sel:DWORD dst_unused:UNUSED_PAD src0_sel:WORD_1 src1_sel:DWORD
	v_fma_f16 v2, v111, v10, v2
	v_fma_f16 v1, v111, v1, -v4
	v_pack_b32_f16 v1, v2, v1
	s_waitcnt vmcnt(7)
	v_lshrrev_b32_e32 v2, 16, v14
	v_mul_f16_sdwa v4, v108, v2 dst_sel:DWORD dst_unused:UNUSED_PAD src0_sel:WORD_1 src1_sel:DWORD
	v_mul_f16_sdwa v5, v108, v14 dst_sel:DWORD dst_unused:UNUSED_PAD src0_sel:WORD_1 src1_sel:DWORD
	v_fma_f16 v4, v108, v14, v4
	v_fma_f16 v2, v108, v2, -v5
	v_pack_b32_f16 v2, v4, v2
	s_waitcnt vmcnt(6)
	v_lshrrev_b32_e32 v4, 16, v16
	;; [unrolled: 7-line block ×4, first 2 shown]
	v_mul_f16_sdwa v7, v105, v6 dst_sel:DWORD dst_unused:UNUSED_PAD src0_sel:WORD_1 src1_sel:DWORD
	v_mul_f16_sdwa v8, v105, v17 dst_sel:DWORD dst_unused:UNUSED_PAD src0_sel:WORD_1 src1_sel:DWORD
	v_fma_f16 v7, v105, v17, v7
	v_fma_f16 v6, v105, v6, -v8
	v_pack_b32_f16 v6, v7, v6
	ds_write_b32 v76, v6 offset:2000
	s_waitcnt vmcnt(3)
	v_lshrrev_b32_e32 v6, 16, v19
	v_mul_f16_sdwa v7, v104, v6 dst_sel:DWORD dst_unused:UNUSED_PAD src0_sel:WORD_1 src1_sel:DWORD
	v_mul_f16_sdwa v8, v104, v19 dst_sel:DWORD dst_unused:UNUSED_PAD src0_sel:WORD_1 src1_sel:DWORD
	v_fma_f16 v7, v104, v19, v7
	v_fma_f16 v6, v104, v6, -v8
	v_pack_b32_f16 v6, v7, v6
	ds_write2_b32 v113, v1, v6 offset0:104 offset1:229
	s_waitcnt vmcnt(2)
	v_lshrrev_b32_e32 v1, 16, v3
	v_mul_f16_sdwa v6, v103, v1 dst_sel:DWORD dst_unused:UNUSED_PAD src0_sel:WORD_1 src1_sel:DWORD
	v_fma_f16 v6, v103, v3, v6
	v_mul_f16_sdwa v3, v103, v3 dst_sel:DWORD dst_unused:UNUSED_PAD src0_sel:WORD_1 src1_sel:DWORD
	v_fma_f16 v1, v103, v1, -v3
	v_pack_b32_f16 v1, v6, v1
	ds_write2_b32 v79, v2, v1 offset0:89 offset1:214
	s_waitcnt vmcnt(1)
	v_lshrrev_b32_e32 v1, 16, v18
	v_mul_f16_sdwa v2, v102, v1 dst_sel:DWORD dst_unused:UNUSED_PAD src0_sel:WORD_1 src1_sel:DWORD
	v_mul_f16_sdwa v3, v102, v18 dst_sel:DWORD dst_unused:UNUSED_PAD src0_sel:WORD_1 src1_sel:DWORD
	v_fma_f16 v2, v102, v18, v2
	v_fma_f16 v1, v102, v1, -v3
	v_pack_b32_f16 v1, v2, v1
	ds_write2_b32 v110, v4, v1 offset0:74 offset1:199
	s_waitcnt vmcnt(0)
	v_lshrrev_b32_e32 v1, 16, v0
	v_mul_f16_sdwa v2, v101, v1 dst_sel:DWORD dst_unused:UNUSED_PAD src0_sel:WORD_1 src1_sel:DWORD
	v_fma_f16 v2, v101, v0, v2
	v_mul_f16_sdwa v0, v101, v0 dst_sel:DWORD dst_unused:UNUSED_PAD src0_sel:WORD_1 src1_sel:DWORD
	v_fma_f16 v0, v101, v1, -v0
	v_pack_b32_f16 v0, v2, v0
	ds_write2_b32 v137, v5, v0 offset0:59 offset1:184
	s_waitcnt lgkmcnt(0)
	s_barrier
	ds_read2_b32 v[2:3], v136 offset0:116 offset1:241
	ds_read2_b32 v[4:5], v135 offset0:98 offset1:223
	;; [unrolled: 1-line block ×4, first 2 shown]
	ds_read2_b32 v[8:9], v76 offset1:125
	s_mov_b32 s9, 0
	s_waitcnt lgkmcnt(3)
	v_sub_f16_e32 v11, v3, v4
	s_waitcnt lgkmcnt(2)
	v_add_f16_e32 v10, v4, v1
	s_waitcnt lgkmcnt(1)
	v_sub_f16_e32 v12, v6, v1
	v_add_f16_e32 v28, v11, v12
	v_sub_f16_sdwa v11, v3, v4 dst_sel:DWORD dst_unused:UNUSED_PAD src0_sel:WORD_1 src1_sel:WORD_1
	v_sub_f16_sdwa v12, v6, v1 dst_sel:DWORD dst_unused:UNUSED_PAD src0_sel:WORD_1 src1_sel:WORD_1
	s_waitcnt lgkmcnt(0)
	v_lshrrev_b32_e32 v24, 16, v8
	v_add_f16_e32 v29, v11, v12
	v_add_f16_sdwa v11, v4, v1 dst_sel:DWORD dst_unused:UNUSED_PAD src0_sel:WORD_1 src1_sel:WORD_1
	v_fma_f16 v25, v10, -0.5, v8
	v_sub_f16_sdwa v26, v3, v6 dst_sel:DWORD dst_unused:UNUSED_PAD src0_sel:WORD_1 src1_sel:WORD_1
	v_fma_f16 v30, v11, -0.5, v24
	v_sub_f16_e32 v31, v3, v6
	v_fma_f16 v10, v26, s2, v25
	v_sub_f16_sdwa v27, v4, v1 dst_sel:DWORD dst_unused:UNUSED_PAD src0_sel:WORD_1 src1_sel:WORD_1
	v_fma_f16 v11, v31, s8, v30
	v_sub_f16_e32 v32, v4, v1
	v_fma_f16 v10, v27, s3, v10
	v_fma_f16 v11, v32, s7, v11
	;; [unrolled: 1-line block ×4, first 2 shown]
	v_pack_b32_f16 v33, v10, v11
	v_add_f16_e32 v10, v8, v3
	v_add_f16_sdwa v11, v24, v3 dst_sel:DWORD dst_unused:UNUSED_PAD src0_sel:DWORD src1_sel:WORD_1
	v_add_f16_e32 v10, v10, v4
	v_add_f16_sdwa v11, v11, v4 dst_sel:DWORD dst_unused:UNUSED_PAD src0_sel:DWORD src1_sel:WORD_1
	;; [unrolled: 2-line block ×4, first 2 shown]
	v_pack_b32_f16 v34, v10, v11
	ds_read_b32 v35, v76 offset:12000
	ds_read2_b32 v[14:15], v131 offset0:110 offset1:235
	ds_read2_b32 v[16:17], v127 offset0:80 offset1:205
	;; [unrolled: 1-line block ×7, first 2 shown]
	s_waitcnt lgkmcnt(0)
	s_barrier
	ds_write2_b32 v140, v34, v33 offset1:1
	v_sub_f16_e32 v33, v4, v3
	v_sub_f16_e32 v34, v1, v6
	v_add_f16_e32 v33, v33, v34
	v_add_f16_e32 v34, v3, v6
	v_fma_f16 v8, v34, -0.5, v8
	v_fma_f16 v34, v27, s8, v8
	v_fma_f16 v8, v27, s2, v8
	;; [unrolled: 1-line block ×6, first 2 shown]
	v_add_f16_sdwa v33, v3, v6 dst_sel:DWORD dst_unused:UNUSED_PAD src0_sel:WORD_1 src1_sel:WORD_1
	v_fma_f16 v24, v33, -0.5, v24
	v_sub_f16_sdwa v3, v4, v3 dst_sel:DWORD dst_unused:UNUSED_PAD src0_sel:WORD_1 src1_sel:WORD_1
	v_sub_f16_sdwa v1, v1, v6 dst_sel:DWORD dst_unused:UNUSED_PAD src0_sel:WORD_1 src1_sel:WORD_1
	v_add_f16_e32 v1, v3, v1
	v_fma_f16 v3, v32, s2, v24
	v_fma_f16 v4, v32, s8, v24
	;; [unrolled: 1-line block ×6, first 2 shown]
	v_pack_b32_f16 v1, v8, v1
	v_pack_b32_f16 v3, v34, v3
	ds_write2_b32 v140, v3, v1 offset0:2 offset1:3
	v_fma_f16 v1, v26, s8, v25
	v_fma_f16 v3, v31, s2, v30
	;; [unrolled: 1-line block ×6, first 2 shown]
	v_add_f16_e32 v4, v5, v16
	v_lshrrev_b32_e32 v8, 16, v9
	v_sub_f16_e32 v24, v14, v5
	v_sub_f16_e32 v25, v7, v16
	v_pack_b32_f16 v1, v1, v3
	v_add_f16_sdwa v27, v5, v16 dst_sel:DWORD dst_unused:UNUSED_PAD src0_sel:WORD_1 src1_sel:WORD_1
	v_fma_f16 v4, v4, -0.5, v9
	v_add_f16_e32 v24, v24, v25
	v_sub_f16_sdwa v25, v14, v5 dst_sel:DWORD dst_unused:UNUSED_PAD src0_sel:WORD_1 src1_sel:WORD_1
	v_sub_f16_sdwa v26, v7, v16 dst_sel:DWORD dst_unused:UNUSED_PAD src0_sel:WORD_1 src1_sel:WORD_1
	ds_write_b32 v140, v1 offset:16
	v_sub_f16_sdwa v1, v14, v7 dst_sel:DWORD dst_unused:UNUSED_PAD src0_sel:WORD_1 src1_sel:WORD_1
	v_fma_f16 v27, v27, -0.5, v8
	v_sub_f16_e32 v28, v14, v7
	v_add_f16_e32 v25, v25, v26
	v_fma_f16 v3, v1, s2, v4
	v_sub_f16_sdwa v26, v5, v16 dst_sel:DWORD dst_unused:UNUSED_PAD src0_sel:WORD_1 src1_sel:WORD_1
	v_fma_f16 v29, v28, s8, v27
	v_sub_f16_e32 v30, v5, v16
	v_fma_f16 v3, v26, s3, v3
	v_fma_f16 v29, v30, s7, v29
	v_add_f16_e32 v6, v14, v7
	v_fma_f16 v3, v24, s6, v3
	v_fma_f16 v29, v25, s6, v29
	v_fma_f16 v6, v6, -0.5, v9
	v_add_f16_e32 v9, v9, v14
	v_pack_b32_f16 v3, v3, v29
	v_add_f16_sdwa v29, v8, v14 dst_sel:DWORD dst_unused:UNUSED_PAD src0_sel:DWORD src1_sel:WORD_1
	v_add_f16_e32 v9, v9, v5
	v_add_f16_sdwa v29, v29, v5 dst_sel:DWORD dst_unused:UNUSED_PAD src0_sel:DWORD src1_sel:WORD_1
	v_add_f16_e32 v9, v9, v16
	v_add_f16_sdwa v29, v29, v16 dst_sel:DWORD dst_unused:UNUSED_PAD src0_sel:DWORD src1_sel:WORD_1
	v_mov_b32_e32 v81, s9
	s_mov_b64 s[12:13], 0x7d
	v_add_f16_e32 v9, v9, v7
	v_add_f16_sdwa v29, v29, v7 dst_sel:DWORD dst_unused:UNUSED_PAD src0_sel:DWORD src1_sel:WORD_1
	v_lshl_add_u64 v[32:33], v[80:81], 0, s[12:13]
	v_pack_b32_f16 v9, v9, v29
	v_mul_u32_u24_e32 v29, 5, v32
	v_lshlrev_b32_e32 v141, 2, v29
	ds_write2_b32 v141, v9, v3 offset1:1
	v_sub_f16_e32 v3, v5, v14
	v_sub_f16_e32 v9, v16, v7
	v_add_f16_e32 v3, v3, v9
	v_fma_f16 v9, v26, s8, v6
	v_fma_f16 v6, v26, s2, v6
	;; [unrolled: 1-line block ×6, first 2 shown]
	v_add_f16_sdwa v6, v14, v7 dst_sel:DWORD dst_unused:UNUSED_PAD src0_sel:WORD_1 src1_sel:WORD_1
	v_fma_f16 v6, v6, -0.5, v8
	v_sub_f16_sdwa v5, v5, v14 dst_sel:DWORD dst_unused:UNUSED_PAD src0_sel:WORD_1 src1_sel:WORD_1
	v_sub_f16_sdwa v7, v16, v7 dst_sel:DWORD dst_unused:UNUSED_PAD src0_sel:WORD_1 src1_sel:WORD_1
	v_add_f16_e32 v5, v5, v7
	v_fma_f16 v7, v30, s2, v6
	v_fma_f16 v6, v30, s8, v6
	;; [unrolled: 1-line block ×6, first 2 shown]
	v_pack_b32_f16 v3, v3, v5
	v_pack_b32_f16 v5, v9, v7
	ds_write2_b32 v141, v5, v3 offset0:2 offset1:3
	v_fma_f16 v1, v1, s8, v4
	v_fma_f16 v3, v28, s2, v27
	;; [unrolled: 1-line block ×6, first 2 shown]
	v_pack_b32_f16 v1, v1, v3
	v_sub_f16_e32 v4, v15, v20
	v_sub_f16_e32 v5, v22, v17
	ds_write_b32 v141, v1 offset:16
	v_add_f16_e32 v1, v20, v17
	v_lshrrev_b32_e32 v8, 16, v18
	v_add_f16_sdwa v9, v20, v17 dst_sel:DWORD dst_unused:UNUSED_PAD src0_sel:WORD_1 src1_sel:WORD_1
	v_add_f16_e32 v4, v4, v5
	v_sub_f16_sdwa v5, v15, v20 dst_sel:DWORD dst_unused:UNUSED_PAD src0_sel:WORD_1 src1_sel:WORD_1
	v_sub_f16_sdwa v6, v22, v17 dst_sel:DWORD dst_unused:UNUSED_PAD src0_sel:WORD_1 src1_sel:WORD_1
	v_fma_f16 v1, v1, -0.5, v18
	v_sub_f16_sdwa v3, v15, v22 dst_sel:DWORD dst_unused:UNUSED_PAD src0_sel:WORD_1 src1_sel:WORD_1
	v_fma_f16 v9, v9, -0.5, v8
	v_sub_f16_e32 v14, v15, v22
	v_add_f16_e32 v5, v5, v6
	v_fma_f16 v6, v3, s2, v1
	v_sub_f16_sdwa v7, v20, v17 dst_sel:DWORD dst_unused:UNUSED_PAD src0_sel:WORD_1 src1_sel:WORD_1
	v_fma_f16 v16, v14, s8, v9
	v_sub_f16_e32 v24, v20, v17
	v_fma_f16 v6, v7, s3, v6
	v_fma_f16 v16, v24, s7, v16
	;; [unrolled: 1-line block ×4, first 2 shown]
	v_pack_b32_f16 v6, v6, v16
	v_add_f16_e32 v16, v18, v15
	v_add_f16_sdwa v25, v8, v15 dst_sel:DWORD dst_unused:UNUSED_PAD src0_sel:DWORD src1_sel:WORD_1
	v_add_f16_e32 v16, v16, v20
	v_add_f16_sdwa v25, v25, v20 dst_sel:DWORD dst_unused:UNUSED_PAD src0_sel:DWORD src1_sel:WORD_1
	;; [unrolled: 2-line block ×3, first 2 shown]
	s_mov_b64 s[12:13], 0xfa
	v_add_f16_e32 v16, v16, v22
	v_add_f16_sdwa v25, v25, v22 dst_sel:DWORD dst_unused:UNUSED_PAD src0_sel:DWORD src1_sel:WORD_1
	v_lshl_add_u64 v[64:65], v[80:81], 0, s[12:13]
	v_pack_b32_f16 v16, v16, v25
	v_mul_u32_u24_e32 v25, 5, v64
	v_lshlrev_b32_e32 v142, 2, v25
	ds_write2_b32 v142, v16, v6 offset1:1
	v_sub_f16_e32 v6, v20, v15
	v_sub_f16_e32 v16, v17, v22
	v_add_f16_e32 v6, v6, v16
	v_add_f16_e32 v16, v15, v22
	v_fma_f16 v16, v16, -0.5, v18
	v_fma_f16 v18, v7, s8, v16
	v_fma_f16 v16, v7, s2, v16
	;; [unrolled: 1-line block ×6, first 2 shown]
	v_add_f16_sdwa v16, v15, v22 dst_sel:DWORD dst_unused:UNUSED_PAD src0_sel:WORD_1 src1_sel:WORD_1
	v_fma_f16 v8, v16, -0.5, v8
	v_sub_f16_sdwa v15, v20, v15 dst_sel:DWORD dst_unused:UNUSED_PAD src0_sel:WORD_1 src1_sel:WORD_1
	v_sub_f16_sdwa v16, v17, v22 dst_sel:DWORD dst_unused:UNUSED_PAD src0_sel:WORD_1 src1_sel:WORD_1
	v_add_f16_e32 v15, v15, v16
	v_fma_f16 v16, v24, s2, v8
	v_fma_f16 v8, v24, s8, v8
	;; [unrolled: 1-line block ×10, first 2 shown]
	v_pack_b32_f16 v6, v6, v8
	v_pack_b32_f16 v8, v18, v16
	v_fma_f16 v1, v4, s6, v1
	v_fma_f16 v3, v5, s6, v3
	ds_write2_b32 v142, v8, v6 offset0:2 offset1:3
	v_add_f16_e32 v4, v21, v10
	v_lshrrev_b32_e32 v6, 16, v19
	v_sub_f16_e32 v8, v12, v21
	v_sub_f16_e32 v9, v23, v10
	v_pack_b32_f16 v1, v1, v3
	v_add_f16_sdwa v15, v21, v10 dst_sel:DWORD dst_unused:UNUSED_PAD src0_sel:WORD_1 src1_sel:WORD_1
	v_fma_f16 v4, v4, -0.5, v19
	v_add_f16_e32 v8, v8, v9
	v_sub_f16_sdwa v9, v12, v21 dst_sel:DWORD dst_unused:UNUSED_PAD src0_sel:WORD_1 src1_sel:WORD_1
	v_sub_f16_sdwa v14, v23, v10 dst_sel:DWORD dst_unused:UNUSED_PAD src0_sel:WORD_1 src1_sel:WORD_1
	ds_write_b32 v142, v1 offset:16
	v_sub_f16_sdwa v1, v12, v23 dst_sel:DWORD dst_unused:UNUSED_PAD src0_sel:WORD_1 src1_sel:WORD_1
	v_fma_f16 v15, v15, -0.5, v6
	v_sub_f16_e32 v16, v12, v23
	v_add_f16_e32 v9, v9, v14
	v_fma_f16 v3, v1, s2, v4
	v_sub_f16_sdwa v14, v21, v10 dst_sel:DWORD dst_unused:UNUSED_PAD src0_sel:WORD_1 src1_sel:WORD_1
	v_fma_f16 v17, v16, s8, v15
	v_sub_f16_e32 v18, v21, v10
	v_fma_f16 v3, v14, s3, v3
	v_fma_f16 v17, v18, s7, v17
	;; [unrolled: 1-line block ×4, first 2 shown]
	v_add_f16_e32 v7, v19, v12
	v_pack_b32_f16 v3, v3, v17
	v_add_f16_sdwa v17, v6, v12 dst_sel:DWORD dst_unused:UNUSED_PAD src0_sel:DWORD src1_sel:WORD_1
	v_add_f16_e32 v7, v7, v21
	v_add_f16_sdwa v17, v17, v21 dst_sel:DWORD dst_unused:UNUSED_PAD src0_sel:DWORD src1_sel:WORD_1
	v_add_f16_e32 v7, v7, v10
	v_add_f16_sdwa v17, v17, v10 dst_sel:DWORD dst_unused:UNUSED_PAD src0_sel:DWORD src1_sel:WORD_1
	s_mov_b64 s[12:13], 0x177
	v_add_f16_e32 v7, v7, v23
	v_add_f16_sdwa v17, v17, v23 dst_sel:DWORD dst_unused:UNUSED_PAD src0_sel:DWORD src1_sel:WORD_1
	v_lshl_add_u64 v[68:69], v[80:81], 0, s[12:13]
	v_pack_b32_f16 v7, v7, v17
	v_mul_u32_u24_e32 v17, 5, v68
	v_add_f16_e32 v5, v12, v23
	v_lshlrev_b32_e32 v143, 2, v17
	v_fma_f16 v5, v5, -0.5, v19
	ds_write2_b32 v143, v7, v3 offset1:1
	v_sub_f16_e32 v3, v21, v12
	v_sub_f16_e32 v7, v10, v23
	v_add_f16_e32 v3, v3, v7
	v_fma_f16 v7, v14, s8, v5
	v_fma_f16 v5, v14, s2, v5
	;; [unrolled: 1-line block ×6, first 2 shown]
	v_add_f16_sdwa v5, v12, v23 dst_sel:DWORD dst_unused:UNUSED_PAD src0_sel:WORD_1 src1_sel:WORD_1
	v_fma_f16 v5, v5, -0.5, v6
	v_sub_f16_sdwa v6, v21, v12 dst_sel:DWORD dst_unused:UNUSED_PAD src0_sel:WORD_1 src1_sel:WORD_1
	v_sub_f16_sdwa v10, v10, v23 dst_sel:DWORD dst_unused:UNUSED_PAD src0_sel:WORD_1 src1_sel:WORD_1
	v_add_f16_e32 v6, v6, v10
	v_fma_f16 v10, v18, s2, v5
	v_fma_f16 v5, v18, s8, v5
	;; [unrolled: 1-line block ×6, first 2 shown]
	v_pack_b32_f16 v3, v3, v5
	v_pack_b32_f16 v5, v7, v10
	v_fma_f16 v1, v1, s8, v4
	ds_write2_b32 v143, v5, v3 offset0:2 offset1:3
	v_fma_f16 v1, v14, s7, v1
	v_fma_f16 v3, v16, s2, v15
	;; [unrolled: 1-line block ×4, first 2 shown]
	v_add_f16_e32 v4, v0, v11
	v_add_f16_e32 v5, v13, v35
	v_lshrrev_b32_e32 v6, 16, v2
	v_sub_f16_e32 v7, v13, v0
	v_sub_f16_e32 v8, v35, v11
	v_fma_f16 v3, v9, s6, v3
	v_fma_f16 v4, v4, -0.5, v2
	v_fma_f16 v5, v5, -0.5, v2
	v_add_f16_e32 v2, v2, v13
	v_add_f16_e32 v7, v7, v8
	v_add_f16_sdwa v8, v6, v13 dst_sel:DWORD dst_unused:UNUSED_PAD src0_sel:DWORD src1_sel:WORD_1
	v_add_f16_sdwa v12, v0, v11 dst_sel:DWORD dst_unused:UNUSED_PAD src0_sel:WORD_1 src1_sel:WORD_1
	v_add_f16_e32 v2, v2, v0
	v_add_f16_sdwa v8, v8, v0 dst_sel:DWORD dst_unused:UNUSED_PAD src0_sel:DWORD src1_sel:WORD_1
	v_sub_f16_sdwa v16, v13, v35 dst_sel:DWORD dst_unused:UNUSED_PAD src0_sel:WORD_1 src1_sel:WORD_1
	v_sub_f16_e32 v17, v13, v35
	v_pack_b32_f16 v1, v1, v3
	v_fma_f16 v3, v12, -0.5, v6
	v_sub_f16_sdwa v9, v0, v11 dst_sel:DWORD dst_unused:UNUSED_PAD src0_sel:WORD_1 src1_sel:WORD_1
	v_sub_f16_e32 v14, v0, v11
	v_sub_f16_sdwa v15, v13, v0 dst_sel:DWORD dst_unused:UNUSED_PAD src0_sel:WORD_1 src1_sel:WORD_1
	v_add_f16_e32 v2, v2, v11
	v_add_f16_sdwa v8, v8, v11 dst_sel:DWORD dst_unused:UNUSED_PAD src0_sel:DWORD src1_sel:WORD_1
	v_sub_f16_sdwa v19, v35, v11 dst_sel:DWORD dst_unused:UNUSED_PAD src0_sel:WORD_1 src1_sel:WORD_1
	ds_write_b32 v143, v1 offset:16
	v_fma_f16 v1, v16, s2, v4
	v_fma_f16 v12, v17, s8, v3
	s_mov_b64 s[12:13], 0x1f4
	v_add_f16_e32 v2, v2, v35
	v_add_f16_sdwa v8, v8, v35 dst_sel:DWORD dst_unused:UNUSED_PAD src0_sel:DWORD src1_sel:WORD_1
	v_add_f16_e32 v15, v15, v19
	v_fma_f16 v1, v9, s3, v1
	v_fma_f16 v12, v14, s7, v12
	v_lshl_add_u64 v[72:73], v[80:81], 0, s[12:13]
	v_fma_f16 v1, v7, s6, v1
	v_fma_f16 v12, v15, s6, v12
	v_pack_b32_f16 v2, v2, v8
	v_mul_u32_u24_e32 v8, 5, v72
	v_pack_b32_f16 v1, v1, v12
	v_lshlrev_b32_e32 v144, 2, v8
	v_sub_f16_e32 v10, v0, v13
	v_sub_f16_e32 v18, v11, v35
	ds_write2_b32 v144, v2, v1 offset1:1
	v_fma_f16 v2, v9, s8, v5
	v_fma_f16 v5, v9, s2, v5
	v_sub_f16_sdwa v0, v0, v13 dst_sel:DWORD dst_unused:UNUSED_PAD src0_sel:WORD_1 src1_sel:WORD_1
	v_add_f16_sdwa v13, v13, v35 dst_sel:DWORD dst_unused:UNUSED_PAD src0_sel:WORD_1 src1_sel:WORD_1
	v_add_f16_e32 v1, v10, v18
	v_fma_f16 v2, v16, s3, v2
	v_fma_f16 v5, v16, s7, v5
	;; [unrolled: 1-line block ×4, first 2 shown]
	v_fma_f16 v5, v13, -0.5, v6
	v_sub_f16_sdwa v11, v11, v35 dst_sel:DWORD dst_unused:UNUSED_PAD src0_sel:WORD_1 src1_sel:WORD_1
	v_fma_f16 v6, v14, s2, v5
	v_fma_f16 v5, v14, s8, v5
	v_add_f16_e32 v0, v0, v11
	v_fma_f16 v6, v17, s7, v6
	v_fma_f16 v5, v17, s3, v5
	;; [unrolled: 1-line block ×4, first 2 shown]
	v_pack_b32_f16 v0, v1, v0
	v_pack_b32_f16 v1, v2, v6
	ds_write2_b32 v144, v1, v0 offset0:2 offset1:3
	v_fma_f16 v0, v16, s8, v4
	v_fma_f16 v1, v17, s2, v3
	;; [unrolled: 1-line block ×6, first 2 shown]
	v_pack_b32_f16 v0, v0, v1
	s_movk_i32 s9, 0xcd
	ds_write_b32 v144, v0 offset:16
	v_mul_lo_u16_sdwa v0, v80, s9 dst_sel:DWORD dst_unused:UNUSED_PAD src0_sel:BYTE_0 src1_sel:DWORD
	v_lshrrev_b16_e32 v16, 10, v0
	v_mul_lo_u16_e32 v0, 5, v16
	v_sub_u16_e32 v0, v80, v0
	v_and_b32_e32 v17, 0xff, v0
	v_lshlrev_b32_e32 v0, 4, v17
	s_waitcnt lgkmcnt(0)
	s_barrier
	global_load_dwordx4 v[0:3], v0, s[10:11]
	v_mul_lo_u16_sdwa v4, v32, s9 dst_sel:DWORD dst_unused:UNUSED_PAD src0_sel:BYTE_0 src1_sel:DWORD
	ds_read2_b32 v[8:9], v136 offset0:116 offset1:241
	v_lshrrev_b16_e32 v33, 10, v4
	v_mul_lo_u16_e32 v4, 5, v33
	v_sub_u16_e32 v4, v32, v4
	ds_read2_b32 v[12:13], v135 offset0:98 offset1:223
	v_and_b32_e32 v34, 0xff, v4
	v_lshlrev_b32_e32 v4, 4, v34
	global_load_dwordx4 v[4:7], v4, s[10:11]
	s_waitcnt lgkmcnt(1)
	v_lshrrev_b32_e32 v10, 16, v9
	s_waitcnt lgkmcnt(0)
	v_lshrrev_b32_e32 v14, 16, v12
	ds_read2_b32 v[36:37], v76 offset1:125
	v_mul_u32_u24_e32 v16, 25, v16
	v_add_lshl_u32 v81, v16, v17, 2
	s_mov_b32 s9, 0xcccd
	s_waitcnt lgkmcnt(0)
	v_lshrrev_b32_e32 v53, 16, v36
	s_waitcnt vmcnt(1)
	v_mul_f16_sdwa v11, v9, v0 dst_sel:DWORD dst_unused:UNUSED_PAD src0_sel:DWORD src1_sel:WORD_1
	v_fma_f16 v35, v10, v0, v11
	v_mul_f16_sdwa v10, v10, v0 dst_sel:DWORD dst_unused:UNUSED_PAD src0_sel:DWORD src1_sel:WORD_1
	v_fma_f16 v9, v9, v0, -v10
	ds_read2_b32 v[10:11], v134 offset0:86 offset1:211
	v_mul_f16_sdwa v15, v12, v1 dst_sel:DWORD dst_unused:UNUSED_PAD src0_sel:DWORD src1_sel:WORD_1
	v_fma_f16 v48, v14, v1, v15
	v_mul_f16_sdwa v14, v14, v1 dst_sel:DWORD dst_unused:UNUSED_PAD src0_sel:DWORD src1_sel:WORD_1
	v_fma_f16 v12, v12, v1, -v14
	ds_read2_b32 v[14:15], v133 offset0:68 offset1:193
	s_waitcnt lgkmcnt(1)
	v_lshrrev_b32_e32 v18, 16, v11
	v_mul_f16_sdwa v19, v11, v2 dst_sel:DWORD dst_unused:UNUSED_PAD src0_sel:DWORD src1_sel:WORD_1
	v_fma_f16 v49, v18, v2, v19
	v_mul_f16_sdwa v18, v18, v2 dst_sel:DWORD dst_unused:UNUSED_PAD src0_sel:DWORD src1_sel:WORD_1
	v_fma_f16 v11, v11, v2, -v18
	s_waitcnt lgkmcnt(0)
	v_lshrrev_b32_e32 v18, 16, v14
	v_mul_f16_sdwa v19, v14, v3 dst_sel:DWORD dst_unused:UNUSED_PAD src0_sel:DWORD src1_sel:WORD_1
	v_add_f16_e32 v16, v36, v9
	v_add_f16_e32 v17, v53, v35
	v_fma_f16 v50, v18, v3, v19
	v_mul_f16_sdwa v18, v18, v3 dst_sel:DWORD dst_unused:UNUSED_PAD src0_sel:DWORD src1_sel:WORD_1
	v_add_f16_e32 v16, v16, v12
	v_add_f16_e32 v17, v17, v48
	v_fma_f16 v14, v14, v3, -v18
	v_add_f16_e32 v16, v16, v11
	v_add_f16_e32 v17, v17, v49
	;; [unrolled: 1-line block ×4, first 2 shown]
	v_pack_b32_f16 v54, v16, v17
	v_add_f16_e32 v16, v12, v11
	v_add_f16_e32 v17, v48, v49
	v_sub_f16_e32 v18, v9, v12
	v_sub_f16_e32 v19, v14, v11
	v_fma_f16 v55, v16, -0.5, v36
	v_sub_f16_e32 v56, v35, v50
	v_fma_f16 v58, v17, -0.5, v53
	v_sub_f16_e32 v59, v9, v14
	v_add_f16_e32 v51, v18, v19
	v_sub_f16_e32 v18, v35, v48
	v_sub_f16_e32 v19, v50, v49
	v_fma_f16 v16, v56, s2, v55
	v_sub_f16_e32 v57, v48, v49
	v_fma_f16 v17, v59, s8, v58
	v_sub_f16_e32 v60, v12, v11
	v_add_f16_e32 v52, v18, v19
	v_fma_f16 v16, v57, s3, v16
	v_fma_f16 v17, v60, s7, v17
	;; [unrolled: 1-line block ×4, first 2 shown]
	v_pack_b32_f16 v61, v16, v17
	v_mul_u32_u24_sdwa v16, v64, s9 dst_sel:DWORD dst_unused:UNUSED_PAD src0_sel:WORD_0 src1_sel:DWORD
	v_lshrrev_b32_e32 v62, 18, v16
	v_mul_lo_u16_e32 v16, 5, v62
	v_sub_u16_e32 v63, v64, v16
	v_lshlrev_b16_e32 v16, 2, v63
	v_lshlrev_b32_e32 v20, 2, v16
	v_mul_u32_u24_sdwa v16, v68, s9 dst_sel:DWORD dst_unused:UNUSED_PAD src0_sel:WORD_0 src1_sel:DWORD
	v_lshrrev_b32_e32 v65, 18, v16
	v_mul_lo_u16_e32 v16, 5, v65
	v_sub_u16_e32 v66, v68, v16
	v_lshlrev_b16_e32 v16, 2, v66
	v_lshlrev_b32_e32 v21, 2, v16
	;; [unrolled: 6-line block ×3, first 2 shown]
	ds_read_b32 v70, v76 offset:12000
	ds_read2_b32 v[38:39], v131 offset0:110 offset1:235
	ds_read2_b32 v[40:41], v127 offset0:80 offset1:205
	;; [unrolled: 1-line block ×7, first 2 shown]
	global_load_dwordx4 v[28:31], v20, s[10:11]
	global_load_dwordx4 v[24:27], v21, s[10:11]
                                        ; kill: killed $vgpr20
                                        ; kill: killed $vgpr21
	s_nop 0
	global_load_dwordx4 v[20:23], v22, s[10:11]
	v_sub_f16_e32 v12, v12, v9
	v_add_f16_e32 v9, v9, v14
	v_sub_f16_e32 v11, v11, v14
	v_fma_f16 v9, v9, -0.5, v36
	v_add_f16_e32 v11, v12, v11
	v_fma_f16 v12, v57, s8, v9
	v_fma_f16 v9, v57, s2, v9
	;; [unrolled: 1-line block ×6, first 2 shown]
	v_add_f16_e32 v11, v35, v50
	v_fma_f16 v11, v11, -0.5, v53
	v_sub_f16_e32 v14, v48, v35
	v_sub_f16_e32 v35, v49, v50
	v_add_f16_e32 v14, v14, v35
	v_fma_f16 v35, v60, s2, v11
	v_fma_f16 v11, v60, s8, v11
	;; [unrolled: 1-line block ×6, first 2 shown]
	v_pack_b32_f16 v12, v12, v35
	v_pack_b32_f16 v9, v9, v11
	s_waitcnt lgkmcnt(0)
	s_barrier
	ds_write2_b32 v81, v12, v9 offset0:10 offset1:15
	v_lshrrev_b32_e32 v9, 16, v13
	s_waitcnt vmcnt(3)
	v_mul_f16_sdwa v12, v13, v5 dst_sel:DWORD dst_unused:UNUSED_PAD src0_sel:DWORD src1_sel:WORD_1
	v_mul_f16_sdwa v11, v9, v5 dst_sel:DWORD dst_unused:UNUSED_PAD src0_sel:DWORD src1_sel:WORD_1
	v_fma_f16 v9, v9, v5, v12
	v_lshrrev_b32_e32 v12, 16, v15
	v_lshrrev_b32_e32 v35, 16, v38
	v_mul_f16_sdwa v36, v38, v4 dst_sel:DWORD dst_unused:UNUSED_PAD src0_sel:DWORD src1_sel:WORD_1
	v_fma_f16 v11, v13, v5, -v11
	v_mul_f16_sdwa v13, v12, v7 dst_sel:DWORD dst_unused:UNUSED_PAD src0_sel:DWORD src1_sel:WORD_1
	v_mul_f16_sdwa v14, v15, v7 dst_sel:DWORD dst_unused:UNUSED_PAD src0_sel:DWORD src1_sel:WORD_1
	v_fma_f16 v36, v35, v4, v36
	v_mul_f16_sdwa v35, v35, v4 dst_sel:DWORD dst_unused:UNUSED_PAD src0_sel:DWORD src1_sel:WORD_1
	v_fma_f16 v13, v15, v7, -v13
	v_fma_f16 v12, v12, v7, v14
	v_fma_f16 v14, v56, s8, v55
	;; [unrolled: 1-line block ×3, first 2 shown]
	v_fma_f16 v35, v38, v4, -v35
	v_lshrrev_b32_e32 v38, 16, v40
	v_mul_f16_sdwa v48, v40, v6 dst_sel:DWORD dst_unused:UNUSED_PAD src0_sel:DWORD src1_sel:WORD_1
	v_fma_f16 v14, v57, s7, v14
	v_fma_f16 v15, v60, s3, v15
	;; [unrolled: 1-line block ×3, first 2 shown]
	v_mul_f16_sdwa v38, v38, v6 dst_sel:DWORD dst_unused:UNUSED_PAD src0_sel:DWORD src1_sel:WORD_1
	v_fma_f16 v14, v51, s6, v14
	v_fma_f16 v15, v52, s6, v15
	v_fma_f16 v38, v40, v6, -v38
	v_add_f16_e32 v40, v11, v38
	v_add_f16_e32 v49, v35, v13
	v_lshrrev_b32_e32 v50, 16, v37
	v_pack_b32_f16 v14, v14, v15
	v_fma_f16 v40, v40, -0.5, v37
	v_fma_f16 v49, v49, -0.5, v37
	v_add_f16_e32 v37, v37, v35
	ds_write_b32 v81, v14 offset:80
	v_mul_u32_u24_e32 v14, 25, v33
	v_add_f16_e32 v15, v50, v36
	v_add_lshl_u32 v145, v14, v34, 2
	v_add_f16_e32 v14, v37, v11
	v_add_f16_e32 v15, v15, v9
	v_sub_f16_e32 v51, v35, v11
	v_sub_f16_e32 v52, v13, v38
	v_add_f16_e32 v14, v14, v38
	v_add_f16_e32 v15, v15, v48
	;; [unrolled: 1-line block ×3, first 2 shown]
	v_sub_f16_e32 v52, v36, v9
	v_sub_f16_e32 v53, v12, v48
	v_add_f16_e32 v14, v14, v13
	v_add_f16_e32 v15, v15, v12
	;; [unrolled: 1-line block ×4, first 2 shown]
	v_pack_b32_f16 v14, v14, v15
	v_sub_f16_e32 v15, v36, v12
	v_fma_f16 v37, v37, -0.5, v50
	v_sub_f16_e32 v53, v35, v13
	ds_write2_b32 v81, v54, v61 offset1:5
	v_fma_f16 v33, v15, s2, v40
	v_sub_f16_e32 v34, v9, v48
	v_fma_f16 v54, v53, s8, v37
	v_sub_f16_e32 v55, v11, v38
	v_fma_f16 v33, v34, s3, v33
	v_fma_f16 v54, v55, s7, v54
	v_fma_f16 v33, v51, s6, v33
	v_fma_f16 v54, v52, s6, v54
	v_pack_b32_f16 v33, v33, v54
	v_sub_f16_e32 v11, v11, v35
	v_sub_f16_e32 v13, v38, v13
	ds_write2_b32 v145, v14, v33 offset1:5
	v_add_f16_e32 v11, v11, v13
	v_fma_f16 v13, v34, s8, v49
	v_fma_f16 v14, v34, s2, v49
	;; [unrolled: 1-line block ×6, first 2 shown]
	v_add_f16_e32 v14, v36, v12
	v_fma_f16 v14, v14, -0.5, v50
	v_sub_f16_e32 v9, v9, v36
	v_sub_f16_e32 v12, v48, v12
	v_add_f16_e32 v9, v9, v12
	v_fma_f16 v12, v55, s2, v14
	v_fma_f16 v14, v55, s8, v14
	;; [unrolled: 1-line block ×6, first 2 shown]
	v_pack_b32_f16 v12, v13, v12
	v_pack_b32_f16 v9, v11, v9
	ds_write2_b32 v145, v12, v9 offset0:10 offset1:15
	v_lshrrev_b32_e32 v9, 16, v39
	s_waitcnt vmcnt(2)
	v_mul_f16_sdwa v12, v39, v28 dst_sel:DWORD dst_unused:UNUSED_PAD src0_sel:DWORD src1_sel:WORD_1
	v_mul_f16_sdwa v11, v9, v28 dst_sel:DWORD dst_unused:UNUSED_PAD src0_sel:DWORD src1_sel:WORD_1
	v_fma_f16 v9, v9, v28, v12
	v_lshrrev_b32_e32 v12, 16, v41
	v_mul_f16_sdwa v14, v41, v30 dst_sel:DWORD dst_unused:UNUSED_PAD src0_sel:DWORD src1_sel:WORD_1
	v_mul_f16_sdwa v13, v12, v30 dst_sel:DWORD dst_unused:UNUSED_PAD src0_sel:DWORD src1_sel:WORD_1
	v_fma_f16 v12, v12, v30, v14
	v_fma_f16 v14, v15, s8, v40
	;; [unrolled: 1-line block ×3, first 2 shown]
	v_lshrrev_b32_e32 v33, 16, v44
	v_mul_f16_sdwa v34, v44, v29 dst_sel:DWORD dst_unused:UNUSED_PAD src0_sel:DWORD src1_sel:WORD_1
	v_lshrrev_b32_e32 v35, 16, v46
	v_mul_f16_sdwa v36, v46, v31 dst_sel:DWORD dst_unused:UNUSED_PAD src0_sel:DWORD src1_sel:WORD_1
	v_fma_f16 v34, v33, v29, v34
	v_mul_f16_sdwa v33, v33, v29 dst_sel:DWORD dst_unused:UNUSED_PAD src0_sel:DWORD src1_sel:WORD_1
	v_fma_f16 v36, v35, v31, v36
	v_mul_f16_sdwa v35, v35, v31 dst_sel:DWORD dst_unused:UNUSED_PAD src0_sel:DWORD src1_sel:WORD_1
	v_fma_f16 v11, v39, v28, -v11
	v_fma_f16 v13, v41, v30, -v13
	;; [unrolled: 1-line block ×4, first 2 shown]
	v_fma_f16 v15, v53, s2, v37
	v_sub_f16_e32 v37, v11, v33
	v_sub_f16_e32 v38, v35, v13
	v_fma_f16 v15, v55, s3, v15
	v_add_f16_e32 v37, v37, v38
	v_sub_f16_e32 v38, v9, v34
	v_sub_f16_e32 v39, v36, v12
	v_fma_f16 v14, v51, s6, v14
	v_fma_f16 v15, v52, s6, v15
	v_add_f16_e32 v38, v38, v39
	v_lshrrev_b32_e32 v39, 16, v42
	v_pack_b32_f16 v14, v14, v15
	v_add_f16_e32 v15, v42, v11
	v_add_f16_e32 v40, v39, v9
	;; [unrolled: 1-line block ×4, first 2 shown]
	ds_write_b32 v145, v14 offset:80
	v_mad_legacy_u16 v14, v62, 25, v63
	v_add_f16_e32 v15, v15, v13
	v_add_f16_e32 v40, v40, v12
	;; [unrolled: 1-line block ×4, first 2 shown]
	v_sub_f16_e32 v49, v11, v35
	v_lshlrev_b32_e32 v146, 2, v14
	v_sub_f16_e32 v14, v33, v11
	v_add_f16_e32 v11, v11, v35
	v_pack_b32_f16 v15, v15, v40
	v_add_f16_e32 v40, v33, v13
	v_sub_f16_e32 v46, v34, v12
	v_sub_f16_e32 v51, v33, v13
	;; [unrolled: 1-line block ×3, first 2 shown]
	v_fma_f16 v11, v11, -0.5, v42
	v_sub_f16_e32 v41, v9, v36
	v_add_f16_e32 v13, v14, v13
	v_fma_f16 v14, v46, s8, v11
	v_fma_f16 v11, v46, s2, v11
	;; [unrolled: 1-line block ×6, first 2 shown]
	v_add_f16_e32 v13, v9, v36
	v_add_f16_e32 v48, v34, v12
	v_fma_f16 v13, v13, -0.5, v39
	v_sub_f16_e32 v9, v34, v9
	v_sub_f16_e32 v12, v12, v36
	v_add_f16_e32 v9, v9, v12
	v_fma_f16 v12, v51, s2, v13
	v_fma_f16 v13, v51, s8, v13
	v_fma_f16 v40, v40, -0.5, v42
	v_fma_f16 v48, v48, -0.5, v39
	v_fma_f16 v12, v49, s7, v12
	v_fma_f16 v13, v49, s3, v13
	;; [unrolled: 1-line block ×8, first 2 shown]
	v_pack_b32_f16 v12, v14, v12
	v_pack_b32_f16 v9, v11, v9
	v_fma_f16 v44, v37, s6, v44
	v_fma_f16 v50, v38, s6, v50
	ds_write2_b32 v146, v12, v9 offset0:10 offset1:15
	v_lshrrev_b32_e32 v9, 16, v45
	s_waitcnt vmcnt(1)
	v_mul_f16_sdwa v12, v45, v25 dst_sel:DWORD dst_unused:UNUSED_PAD src0_sel:DWORD src1_sel:WORD_1
	v_pack_b32_f16 v44, v44, v50
	v_mul_f16_sdwa v11, v9, v25 dst_sel:DWORD dst_unused:UNUSED_PAD src0_sel:DWORD src1_sel:WORD_1
	v_fma_f16 v9, v9, v25, v12
	v_lshrrev_b32_e32 v12, 16, v47
	v_mul_f16_sdwa v14, v47, v27 dst_sel:DWORD dst_unused:UNUSED_PAD src0_sel:DWORD src1_sel:WORD_1
	v_lshrrev_b32_e32 v33, 16, v18
	v_mul_f16_sdwa v34, v18, v24 dst_sel:DWORD dst_unused:UNUSED_PAD src0_sel:DWORD src1_sel:WORD_1
	ds_write2_b32 v146, v15, v44 offset1:5
	v_mul_f16_sdwa v13, v12, v27 dst_sel:DWORD dst_unused:UNUSED_PAD src0_sel:DWORD src1_sel:WORD_1
	v_fma_f16 v12, v12, v27, v14
	v_fma_f16 v14, v41, s8, v40
	v_fma_f16 v15, v49, s2, v48
	v_fma_f16 v34, v33, v24, v34
	v_mul_f16_sdwa v33, v33, v24 dst_sel:DWORD dst_unused:UNUSED_PAD src0_sel:DWORD src1_sel:WORD_1
	v_fma_f16 v14, v46, s7, v14
	v_fma_f16 v15, v51, s3, v15
	v_fma_f16 v18, v18, v24, -v33
	v_fma_f16 v11, v45, v25, -v11
	v_fma_f16 v14, v37, s6, v14
	v_fma_f16 v15, v38, s6, v15
	v_lshrrev_b32_e32 v33, 16, v16
	v_mul_f16_sdwa v35, v16, v26 dst_sel:DWORD dst_unused:UNUSED_PAD src0_sel:DWORD src1_sel:WORD_1
	v_lshrrev_b32_e32 v37, 16, v43
	v_add_f16_e32 v38, v43, v18
	v_fma_f16 v35, v33, v26, v35
	v_mul_f16_sdwa v33, v33, v26 dst_sel:DWORD dst_unused:UNUSED_PAD src0_sel:DWORD src1_sel:WORD_1
	v_pack_b32_f16 v14, v14, v15
	v_add_f16_e32 v15, v38, v11
	v_add_f16_e32 v38, v37, v34
	v_fma_f16 v13, v47, v27, -v13
	v_fma_f16 v16, v16, v26, -v33
	v_add_f16_e32 v38, v38, v9
	v_add_f16_e32 v36, v18, v13
	;; [unrolled: 1-line block ×5, first 2 shown]
	v_fma_f16 v36, v36, -0.5, v43
	v_sub_f16_e32 v39, v18, v11
	v_sub_f16_e32 v40, v13, v16
	ds_write_b32 v146, v14 offset:80
	v_mad_legacy_u16 v14, v65, 25, v66
	v_add_f16_e32 v15, v15, v13
	v_add_f16_e32 v38, v38, v12
	v_sub_f16_e32 v42, v9, v35
	v_sub_f16_e32 v44, v18, v13
	;; [unrolled: 1-line block ×5, first 2 shown]
	v_pack_b32_f16 v15, v15, v38
	v_sub_f16_e32 v38, v34, v12
	v_lshlrev_b32_e32 v147, 2, v14
	v_add_f16_e32 v11, v11, v13
	v_fma_f16 v13, v42, s8, v36
	v_fma_f16 v14, v42, s2, v36
	;; [unrolled: 1-line block ×6, first 2 shown]
	v_add_f16_e32 v14, v34, v12
	v_fma_f16 v33, v33, -0.5, v43
	v_add_f16_e32 v39, v39, v40
	v_sub_f16_e32 v40, v34, v9
	v_sub_f16_e32 v41, v12, v35
	v_add_f16_e32 v43, v9, v35
	v_fma_f16 v14, v14, -0.5, v37
	v_sub_f16_e32 v9, v9, v34
	v_sub_f16_e32 v12, v35, v12
	v_add_f16_e32 v9, v9, v12
	v_fma_f16 v12, v46, s2, v14
	v_fma_f16 v14, v46, s8, v14
	;; [unrolled: 1-line block ×6, first 2 shown]
	v_pack_b32_f16 v12, v13, v12
	v_pack_b32_f16 v9, v11, v9
	v_fma_f16 v43, v43, -0.5, v37
	ds_write2_b32 v147, v12, v9 offset0:10 offset1:15
	v_lshrrev_b32_e32 v9, 16, v19
	s_waitcnt vmcnt(0)
	v_mul_f16_sdwa v12, v19, v20 dst_sel:DWORD dst_unused:UNUSED_PAD src0_sel:DWORD src1_sel:WORD_1
	v_add_f16_e32 v40, v40, v41
	v_fma_f16 v41, v38, s2, v33
	v_fma_f16 v45, v44, s8, v43
	v_mul_f16_sdwa v11, v9, v20 dst_sel:DWORD dst_unused:UNUSED_PAD src0_sel:DWORD src1_sel:WORD_1
	v_fma_f16 v9, v9, v20, v12
	v_lshrrev_b32_e32 v12, 16, v10
	v_fma_f16 v41, v42, s3, v41
	v_fma_f16 v45, v46, s7, v45
	v_mul_f16_sdwa v13, v12, v21 dst_sel:DWORD dst_unused:UNUSED_PAD src0_sel:DWORD src1_sel:WORD_1
	v_fma_f16 v41, v39, s6, v41
	v_fma_f16 v45, v40, s6, v45
	v_fma_f16 v13, v10, v21, -v13
	v_mul_f16_sdwa v10, v10, v21 dst_sel:DWORD dst_unused:UNUSED_PAD src0_sel:DWORD src1_sel:WORD_1
	v_pack_b32_f16 v41, v41, v45
	v_fma_f16 v10, v12, v21, v10
	v_lshrrev_b32_e32 v12, 16, v17
	ds_write2_b32 v147, v15, v41 offset1:5
	v_mul_f16_sdwa v14, v12, v22 dst_sel:DWORD dst_unused:UNUSED_PAD src0_sel:DWORD src1_sel:WORD_1
	v_mul_f16_sdwa v15, v17, v22 dst_sel:DWORD dst_unused:UNUSED_PAD src0_sel:DWORD src1_sel:WORD_1
	v_fma_f16 v14, v17, v22, -v14
	v_fma_f16 v12, v12, v22, v15
	v_lshrrev_b32_e32 v15, 16, v70
	v_mul_f16_sdwa v17, v70, v23 dst_sel:DWORD dst_unused:UNUSED_PAD src0_sel:DWORD src1_sel:WORD_1
	v_mul_f16_sdwa v16, v15, v23 dst_sel:DWORD dst_unused:UNUSED_PAD src0_sel:DWORD src1_sel:WORD_1
	v_fma_f16 v15, v15, v23, v17
	v_fma_f16 v17, v38, s8, v33
	;; [unrolled: 1-line block ×3, first 2 shown]
	v_fma_f16 v11, v19, v20, -v11
	v_fma_f16 v16, v70, v23, -v16
	v_fma_f16 v17, v42, s7, v17
	v_fma_f16 v18, v46, s3, v18
	v_fma_f16 v17, v39, s6, v17
	v_fma_f16 v18, v40, s6, v18
	v_add_f16_e32 v19, v13, v14
	v_add_f16_e32 v33, v11, v16
	v_lshrrev_b32_e32 v34, 16, v8
	v_fma_f16 v19, v19, -0.5, v8
	v_fma_f16 v33, v33, -0.5, v8
	v_add_f16_e32 v8, v8, v11
	v_pack_b32_f16 v17, v17, v18
	v_add_f16_e32 v18, v34, v9
	v_add_f16_e32 v8, v8, v13
	;; [unrolled: 1-line block ×5, first 2 shown]
	v_sub_f16_e32 v35, v11, v13
	v_sub_f16_e32 v36, v16, v14
	v_add_f16_e32 v8, v8, v16
	v_add_f16_e32 v18, v18, v15
	;; [unrolled: 1-line block ×4, first 2 shown]
	v_sub_f16_e32 v36, v9, v10
	v_sub_f16_e32 v37, v15, v12
	v_pack_b32_f16 v8, v8, v18
	v_sub_f16_e32 v18, v9, v15
	v_fma_f16 v39, v39, -0.5, v34
	v_sub_f16_e32 v40, v11, v16
	v_add_f16_e32 v36, v36, v37
	v_fma_f16 v37, v18, s2, v19
	v_sub_f16_e32 v38, v10, v12
	v_fma_f16 v41, v40, s8, v39
	v_sub_f16_e32 v42, v13, v14
	v_fma_f16 v37, v38, s3, v37
	v_fma_f16 v41, v42, s7, v41
	ds_write_b32 v147, v17 offset:80
	v_mad_legacy_u16 v17, v67, 25, v69
	v_fma_f16 v37, v35, s6, v37
	v_fma_f16 v41, v36, s6, v41
	v_pack_b32_f16 v37, v37, v41
	v_lshlrev_b32_e32 v148, 2, v17
	ds_write2_b32 v148, v8, v37 offset1:5
	v_sub_f16_e32 v8, v13, v11
	v_sub_f16_e32 v11, v14, v16
	v_add_f16_e32 v8, v8, v11
	v_fma_f16 v11, v38, s8, v33
	v_fma_f16 v13, v38, s2, v33
	;; [unrolled: 1-line block ×6, first 2 shown]
	v_add_f16_e32 v13, v9, v15
	v_fma_f16 v13, v13, -0.5, v34
	v_sub_f16_e32 v9, v10, v9
	v_sub_f16_e32 v10, v12, v15
	v_add_f16_e32 v9, v9, v10
	v_fma_f16 v10, v42, s2, v13
	v_fma_f16 v12, v42, s8, v13
	;; [unrolled: 1-line block ×6, first 2 shown]
	v_pack_b32_f16 v10, v11, v10
	v_pack_b32_f16 v8, v8, v9
	ds_write2_b32 v148, v10, v8 offset0:10 offset1:15
	v_fma_f16 v8, v18, s8, v19
	v_fma_f16 v9, v40, s2, v39
	;; [unrolled: 1-line block ×6, first 2 shown]
	v_pack_b32_f16 v8, v8, v9
	v_mov_b32_e32 v12, 41
	ds_write_b32 v148, v8 offset:80
	v_mul_lo_u16_sdwa v8, v80, v12 dst_sel:DWORD dst_unused:UNUSED_PAD src0_sel:BYTE_0 src1_sel:DWORD
	v_lshrrev_b16_e32 v18, 10, v8
	v_mul_lo_u16_e32 v8, 25, v18
	v_sub_u16_e32 v8, v80, v8
	v_and_b32_e32 v19, 0xff, v8
	v_lshlrev_b32_e32 v8, 4, v19
	s_waitcnt lgkmcnt(0)
	s_barrier
	global_load_dwordx4 v[8:11], v8, s[10:11] offset:80
	s_movk_i32 s9, 0x47af
	v_mul_u32_u24_sdwa v13, v64, s9 dst_sel:DWORD dst_unused:UNUSED_PAD src0_sel:WORD_0 src1_sel:DWORD
	v_sub_u16_sdwa v14, v64, v13 dst_sel:DWORD dst_unused:UNUSED_PAD src0_sel:DWORD src1_sel:WORD_1
	v_lshrrev_b16_e32 v14, 1, v14
	v_add_u16_sdwa v34, v14, v13 dst_sel:DWORD dst_unused:UNUSED_PAD src0_sel:DWORD src1_sel:WORD_1
	v_mul_u32_u24_sdwa v13, v68, s9 dst_sel:DWORD dst_unused:UNUSED_PAD src0_sel:WORD_0 src1_sel:DWORD
	v_sub_u16_sdwa v14, v68, v13 dst_sel:DWORD dst_unused:UNUSED_PAD src0_sel:DWORD src1_sel:WORD_1
	v_lshrrev_b16_e32 v14, 1, v14
	v_add_u16_sdwa v35, v14, v13 dst_sel:DWORD dst_unused:UNUSED_PAD src0_sel:DWORD src1_sel:WORD_1
	;; [unrolled: 4-line block ×3, first 2 shown]
	v_mul_lo_u16_sdwa v14, v32, v12 dst_sel:DWORD dst_unused:UNUSED_PAD src0_sel:BYTE_0 src1_sel:DWORD
	ds_read2_b32 v[12:13], v136 offset0:116 offset1:241
	v_lshrrev_b16_e32 v33, 10, v14
	v_mul_lo_u16_e32 v14, 25, v33
	v_sub_u16_e32 v14, v32, v14
	v_and_b32_e32 v52, 0xff, v14
	v_lshlrev_b32_e32 v17, 4, v52
	global_load_dwordx4 v[40:43], v17, s[10:11] offset:80
	s_waitcnt lgkmcnt(0)
	v_lshrrev_b32_e32 v16, 16, v13
	ds_read2_b32 v[14:15], v135 offset0:98 offset1:223
	ds_read2_b32 v[56:57], v76 offset1:125
	ds_read2_b32 v[54:55], v133 offset0:68 offset1:193
	v_mul_u32_u24_e32 v18, 0x7d, v18
	v_add_lshl_u32 v149, v18, v19, 2
	s_waitcnt lgkmcnt(2)
	v_lshrrev_b32_e32 v36, 16, v14
	s_waitcnt lgkmcnt(1)
	v_lshrrev_b32_e32 v88, 16, v56
	v_lshrrev_b16_e32 v97, 4, v34
	v_lshrrev_b16_e32 v99, 4, v35
	;; [unrolled: 1-line block ×3, first 2 shown]
	v_mul_u32_u24_e32 v33, 0x7d, v33
	v_add_lshl_u32 v150, v33, v52, 2
	s_movk_i32 s9, 0x625
	v_lshlrev_b32_e32 v32, 4, v32
	s_waitcnt vmcnt(1)
	v_mul_f16_sdwa v17, v13, v8 dst_sel:DWORD dst_unused:UNUSED_PAD src0_sel:DWORD src1_sel:WORD_1
	v_fma_f16 v53, v16, v8, v17
	v_mul_f16_sdwa v16, v16, v8 dst_sel:DWORD dst_unused:UNUSED_PAD src0_sel:DWORD src1_sel:WORD_1
	v_fma_f16 v13, v13, v8, -v16
	ds_read2_b32 v[16:17], v134 offset0:86 offset1:211
	v_mul_f16_sdwa v37, v14, v9 dst_sel:DWORD dst_unused:UNUSED_PAD src0_sel:DWORD src1_sel:WORD_1
	v_fma_f16 v65, v36, v9, v37
	v_mul_f16_sdwa v36, v36, v9 dst_sel:DWORD dst_unused:UNUSED_PAD src0_sel:DWORD src1_sel:WORD_1
	v_fma_f16 v14, v14, v9, -v36
	s_waitcnt lgkmcnt(0)
	v_lshrrev_b32_e32 v36, 16, v17
	v_mul_f16_sdwa v37, v17, v10 dst_sel:DWORD dst_unused:UNUSED_PAD src0_sel:DWORD src1_sel:WORD_1
	v_fma_f16 v69, v36, v10, v37
	v_mul_f16_sdwa v36, v36, v10 dst_sel:DWORD dst_unused:UNUSED_PAD src0_sel:DWORD src1_sel:WORD_1
	v_fma_f16 v17, v17, v10, -v36
	v_lshrrev_b32_e32 v36, 16, v54
	v_mul_f16_sdwa v37, v54, v11 dst_sel:DWORD dst_unused:UNUSED_PAD src0_sel:DWORD src1_sel:WORD_1
	v_add_f16_e32 v18, v56, v13
	v_add_f16_e32 v19, v88, v53
	v_fma_f16 v73, v36, v11, v37
	v_mul_f16_sdwa v36, v36, v11 dst_sel:DWORD dst_unused:UNUSED_PAD src0_sel:DWORD src1_sel:WORD_1
	v_add_f16_e32 v18, v18, v14
	v_add_f16_e32 v19, v19, v65
	v_fma_f16 v54, v54, v11, -v36
	v_add_f16_e32 v18, v18, v17
	v_add_f16_e32 v19, v19, v69
	;; [unrolled: 1-line block ×4, first 2 shown]
	v_pack_b32_f16 v89, v18, v19
	v_add_f16_e32 v18, v14, v17
	v_add_f16_e32 v19, v65, v69
	v_sub_f16_e32 v36, v13, v14
	v_sub_f16_e32 v37, v54, v17
	v_fma_f16 v90, v18, -0.5, v56
	v_sub_f16_e32 v91, v53, v73
	v_fma_f16 v93, v19, -0.5, v88
	v_sub_f16_e32 v94, v13, v54
	v_add_f16_e32 v86, v36, v37
	v_sub_f16_e32 v36, v53, v65
	v_sub_f16_e32 v37, v73, v69
	v_fma_f16 v18, v91, s2, v90
	v_sub_f16_e32 v92, v65, v69
	v_fma_f16 v19, v94, s8, v93
	v_sub_f16_e32 v95, v14, v17
	v_add_f16_e32 v87, v36, v37
	v_fma_f16 v18, v92, s3, v18
	v_fma_f16 v19, v95, s7, v19
	;; [unrolled: 1-line block ×4, first 2 shown]
	v_pack_b32_f16 v96, v18, v19
	v_mul_lo_u16_e32 v18, 25, v97
	v_sub_u16_e32 v98, v64, v18
	v_lshlrev_b16_e32 v18, 4, v98
	v_mov_b32_e32 v19, v77
	v_lshl_add_u64 v[36:37], s[10:11], 0, v[18:19]
	v_mul_lo_u16_e32 v18, 25, v99
	v_sub_u16_e32 v152, v68, v18
	v_lshlrev_b16_e32 v18, 4, v152
	v_lshl_add_u64 v[38:39], s[10:11], 0, v[18:19]
	v_mul_lo_u16_e32 v18, 25, v153
	v_sub_u16_e32 v154, v72, v18
	v_lshlrev_b16_e32 v18, 4, v154
	v_lshl_add_u64 v[58:59], s[10:11], 0, v[18:19]
	ds_read_b32 v155, v76 offset:12000
	ds_read2_b32 v[60:61], v131 offset0:110 offset1:235
	ds_read2_b32 v[62:63], v127 offset0:80 offset1:205
	;; [unrolled: 1-line block ×7, first 2 shown]
	global_load_dwordx4 v[48:51], v[36:37], off offset:80
	global_load_dwordx4 v[44:47], v[38:39], off offset:80
	s_nop 0
	global_load_dwordx4 v[36:39], v[58:59], off offset:80
	v_sub_f16_e32 v14, v14, v13
	v_add_f16_e32 v13, v13, v54
	v_sub_f16_e32 v17, v17, v54
	v_fma_f16 v13, v13, -0.5, v56
	v_add_f16_e32 v14, v14, v17
	v_fma_f16 v17, v92, s8, v13
	v_fma_f16 v13, v92, s2, v13
	;; [unrolled: 1-line block ×6, first 2 shown]
	v_add_f16_e32 v14, v53, v73
	v_fma_f16 v14, v14, -0.5, v88
	v_sub_f16_e32 v53, v65, v53
	v_sub_f16_e32 v54, v69, v73
	v_add_f16_e32 v53, v53, v54
	v_fma_f16 v54, v95, s2, v14
	v_fma_f16 v14, v95, s8, v14
	;; [unrolled: 1-line block ×6, first 2 shown]
	v_pack_b32_f16 v17, v17, v54
	v_pack_b32_f16 v13, v13, v14
	s_waitcnt lgkmcnt(0)
	s_barrier
	ds_write2_b32 v149, v17, v13 offset0:50 offset1:75
	v_lshrrev_b32_e32 v13, 16, v15
	s_waitcnt vmcnt(3)
	v_mul_f16_sdwa v14, v13, v41 dst_sel:DWORD dst_unused:UNUSED_PAD src0_sel:DWORD src1_sel:WORD_1
	v_fma_f16 v14, v15, v41, -v14
	v_mul_f16_sdwa v15, v15, v41 dst_sel:DWORD dst_unused:UNUSED_PAD src0_sel:DWORD src1_sel:WORD_1
	v_fma_f16 v13, v13, v41, v15
	v_lshrrev_b32_e32 v15, 16, v55
	v_mul_f16_sdwa v17, v15, v43 dst_sel:DWORD dst_unused:UNUSED_PAD src0_sel:DWORD src1_sel:WORD_1
	v_fma_f16 v17, v55, v43, -v17
	v_mul_f16_sdwa v53, v55, v43 dst_sel:DWORD dst_unused:UNUSED_PAD src0_sel:DWORD src1_sel:WORD_1
	v_lshrrev_b32_e32 v55, 16, v60
	v_mul_f16_sdwa v56, v60, v40 dst_sel:DWORD dst_unused:UNUSED_PAD src0_sel:DWORD src1_sel:WORD_1
	v_lshrrev_b32_e32 v58, 16, v62
	v_mul_f16_sdwa v59, v62, v42 dst_sel:DWORD dst_unused:UNUSED_PAD src0_sel:DWORD src1_sel:WORD_1
	v_fma_f16 v56, v55, v40, v56
	v_mul_f16_sdwa v55, v55, v40 dst_sel:DWORD dst_unused:UNUSED_PAD src0_sel:DWORD src1_sel:WORD_1
	v_fma_f16 v59, v58, v42, v59
	v_mul_f16_sdwa v58, v58, v42 dst_sel:DWORD dst_unused:UNUSED_PAD src0_sel:DWORD src1_sel:WORD_1
	v_fma_f16 v55, v60, v40, -v55
	v_fma_f16 v58, v62, v42, -v58
	v_add_f16_e32 v60, v14, v58
	v_add_f16_e32 v62, v55, v17
	v_lshrrev_b32_e32 v65, 16, v57
	v_fma_f16 v60, v60, -0.5, v57
	v_fma_f16 v62, v62, -0.5, v57
	v_add_f16_e32 v57, v57, v55
	v_add_f16_e32 v52, v65, v56
	v_fma_f16 v15, v15, v43, v53
	v_fma_f16 v53, v91, s8, v90
	;; [unrolled: 1-line block ×3, first 2 shown]
	v_add_f16_e32 v33, v57, v14
	v_add_f16_e32 v52, v52, v13
	v_fma_f16 v53, v92, s7, v53
	v_fma_f16 v54, v95, s3, v54
	v_sub_f16_e32 v69, v55, v14
	v_sub_f16_e32 v73, v17, v58
	v_add_f16_e32 v33, v33, v58
	v_add_f16_e32 v52, v52, v59
	v_fma_f16 v53, v86, s6, v53
	v_fma_f16 v54, v87, s6, v54
	v_add_f16_e32 v69, v69, v73
	v_sub_f16_e32 v73, v56, v13
	v_sub_f16_e32 v86, v15, v59
	v_add_f16_e32 v33, v33, v17
	v_add_f16_e32 v52, v52, v15
	;; [unrolled: 1-line block ×4, first 2 shown]
	v_pack_b32_f16 v53, v53, v54
	v_pack_b32_f16 v33, v33, v52
	v_sub_f16_e32 v52, v56, v15
	v_fma_f16 v57, v57, -0.5, v65
	v_sub_f16_e32 v86, v55, v17
	ds_write_b32 v149, v53 offset:400
	v_fma_f16 v53, v52, s2, v60
	v_sub_f16_e32 v54, v13, v59
	v_fma_f16 v87, v86, s8, v57
	v_sub_f16_e32 v88, v14, v58
	v_fma_f16 v53, v54, s3, v53
	v_fma_f16 v87, v88, s7, v87
	;; [unrolled: 1-line block ×4, first 2 shown]
	v_pack_b32_f16 v53, v53, v87
	v_sub_f16_e32 v14, v14, v55
	v_sub_f16_e32 v17, v58, v17
	ds_write2_b32 v149, v89, v96 offset1:25
	ds_write2_b32 v150, v33, v53 offset1:25
	v_add_f16_e32 v14, v14, v17
	v_fma_f16 v17, v54, s8, v62
	v_fma_f16 v33, v54, s2, v62
	;; [unrolled: 1-line block ×6, first 2 shown]
	v_add_f16_e32 v33, v56, v15
	v_fma_f16 v33, v33, -0.5, v65
	v_sub_f16_e32 v13, v13, v56
	v_sub_f16_e32 v15, v59, v15
	v_add_f16_e32 v13, v13, v15
	v_fma_f16 v15, v88, s2, v33
	v_fma_f16 v33, v88, s8, v33
	;; [unrolled: 1-line block ×6, first 2 shown]
	v_pack_b32_f16 v15, v17, v15
	v_pack_b32_f16 v13, v14, v13
	ds_write2_b32 v150, v15, v13 offset0:50 offset1:75
	v_lshrrev_b32_e32 v13, 16, v61
	s_waitcnt vmcnt(2)
	v_mul_f16_sdwa v15, v61, v48 dst_sel:DWORD dst_unused:UNUSED_PAD src0_sel:DWORD src1_sel:WORD_1
	v_mul_f16_sdwa v14, v13, v48 dst_sel:DWORD dst_unused:UNUSED_PAD src0_sel:DWORD src1_sel:WORD_1
	v_fma_f16 v13, v13, v48, v15
	v_lshrrev_b32_e32 v15, 16, v63
	v_mul_f16_sdwa v33, v63, v50 dst_sel:DWORD dst_unused:UNUSED_PAD src0_sel:DWORD src1_sel:WORD_1
	v_mul_f16_sdwa v17, v15, v50 dst_sel:DWORD dst_unused:UNUSED_PAD src0_sel:DWORD src1_sel:WORD_1
	v_fma_f16 v15, v15, v50, v33
	v_fma_f16 v33, v52, s8, v60
	;; [unrolled: 1-line block ×3, first 2 shown]
	v_lshrrev_b32_e32 v53, 16, v70
	v_mul_f16_sdwa v54, v70, v49 dst_sel:DWORD dst_unused:UNUSED_PAD src0_sel:DWORD src1_sel:WORD_1
	v_lshrrev_b32_e32 v55, 16, v74
	v_mul_f16_sdwa v56, v74, v51 dst_sel:DWORD dst_unused:UNUSED_PAD src0_sel:DWORD src1_sel:WORD_1
	v_fma_f16 v54, v53, v49, v54
	v_mul_f16_sdwa v53, v53, v49 dst_sel:DWORD dst_unused:UNUSED_PAD src0_sel:DWORD src1_sel:WORD_1
	v_fma_f16 v56, v55, v51, v56
	v_mul_f16_sdwa v55, v55, v51 dst_sel:DWORD dst_unused:UNUSED_PAD src0_sel:DWORD src1_sel:WORD_1
	v_fma_f16 v14, v61, v48, -v14
	v_fma_f16 v17, v63, v50, -v17
	;; [unrolled: 1-line block ×4, first 2 shown]
	v_fma_f16 v52, v86, s2, v57
	v_sub_f16_e32 v57, v14, v53
	v_sub_f16_e32 v58, v55, v17
	v_fma_f16 v52, v88, s3, v52
	v_add_f16_e32 v57, v57, v58
	v_sub_f16_e32 v58, v13, v54
	v_sub_f16_e32 v59, v56, v15
	v_fma_f16 v33, v69, s6, v33
	v_fma_f16 v52, v73, s6, v52
	v_add_f16_e32 v58, v58, v59
	v_lshrrev_b32_e32 v59, 16, v66
	v_pack_b32_f16 v33, v33, v52
	v_add_f16_e32 v52, v66, v14
	v_add_f16_e32 v60, v59, v13
	;; [unrolled: 1-line block ×4, first 2 shown]
	ds_write_b32 v150, v33 offset:400
	v_mad_legacy_u16 v33, v97, s16, v98
	v_add_f16_e32 v52, v52, v17
	v_add_f16_e32 v60, v60, v15
	;; [unrolled: 1-line block ×4, first 2 shown]
	v_sub_f16_e32 v69, v14, v55
	v_lshlrev_b32_e32 v151, 2, v33
	v_sub_f16_e32 v33, v53, v14
	v_add_f16_e32 v14, v14, v55
	v_pack_b32_f16 v52, v52, v60
	v_add_f16_e32 v60, v53, v17
	v_sub_f16_e32 v63, v54, v15
	v_sub_f16_e32 v73, v53, v17
	;; [unrolled: 1-line block ×3, first 2 shown]
	v_fma_f16 v14, v14, -0.5, v66
	v_sub_f16_e32 v61, v13, v56
	v_add_f16_e32 v17, v33, v17
	v_fma_f16 v33, v63, s8, v14
	v_fma_f16 v14, v63, s2, v14
	v_fma_f16 v33, v61, s3, v33
	v_fma_f16 v14, v61, s7, v14
	v_fma_f16 v33, v17, s6, v33
	v_fma_f16 v14, v17, s6, v14
	v_add_f16_e32 v17, v13, v56
	v_add_f16_e32 v65, v54, v15
	v_fma_f16 v17, v17, -0.5, v59
	v_sub_f16_e32 v13, v54, v13
	v_sub_f16_e32 v15, v15, v56
	v_add_f16_e32 v13, v13, v15
	v_fma_f16 v15, v73, s2, v17
	v_fma_f16 v17, v73, s8, v17
	v_fma_f16 v60, v60, -0.5, v66
	v_fma_f16 v65, v65, -0.5, v59
	v_fma_f16 v15, v69, s7, v15
	v_fma_f16 v17, v69, s3, v17
	;; [unrolled: 1-line block ×8, first 2 shown]
	v_pack_b32_f16 v15, v33, v15
	v_pack_b32_f16 v13, v14, v13
	v_fma_f16 v62, v57, s6, v62
	v_fma_f16 v70, v58, s6, v70
	ds_write2_b32 v151, v15, v13 offset0:50 offset1:75
	v_lshrrev_b32_e32 v13, 16, v71
	s_waitcnt vmcnt(1)
	v_mul_f16_sdwa v15, v71, v45 dst_sel:DWORD dst_unused:UNUSED_PAD src0_sel:DWORD src1_sel:WORD_1
	v_pack_b32_f16 v62, v62, v70
	v_mul_f16_sdwa v14, v13, v45 dst_sel:DWORD dst_unused:UNUSED_PAD src0_sel:DWORD src1_sel:WORD_1
	v_fma_f16 v13, v13, v45, v15
	v_lshrrev_b32_e32 v15, 16, v75
	v_mul_f16_sdwa v33, v75, v47 dst_sel:DWORD dst_unused:UNUSED_PAD src0_sel:DWORD src1_sel:WORD_1
	v_lshrrev_b32_e32 v53, 16, v34
	v_mul_f16_sdwa v54, v34, v44 dst_sel:DWORD dst_unused:UNUSED_PAD src0_sel:DWORD src1_sel:WORD_1
	ds_write2_b32 v151, v52, v62 offset1:25
	v_mul_f16_sdwa v17, v15, v47 dst_sel:DWORD dst_unused:UNUSED_PAD src0_sel:DWORD src1_sel:WORD_1
	v_fma_f16 v15, v15, v47, v33
	v_fma_f16 v33, v61, s8, v60
	;; [unrolled: 1-line block ×4, first 2 shown]
	v_mul_f16_sdwa v53, v53, v44 dst_sel:DWORD dst_unused:UNUSED_PAD src0_sel:DWORD src1_sel:WORD_1
	v_fma_f16 v33, v63, s7, v33
	v_fma_f16 v52, v73, s3, v52
	v_fma_f16 v34, v34, v44, -v53
	v_fma_f16 v14, v71, v45, -v14
	v_fma_f16 v33, v57, s6, v33
	v_fma_f16 v52, v58, s6, v52
	v_lshrrev_b32_e32 v53, 16, v18
	v_mul_f16_sdwa v55, v18, v46 dst_sel:DWORD dst_unused:UNUSED_PAD src0_sel:DWORD src1_sel:WORD_1
	v_lshrrev_b32_e32 v57, 16, v67
	v_add_f16_e32 v58, v67, v34
	v_fma_f16 v55, v53, v46, v55
	v_mul_f16_sdwa v53, v53, v46 dst_sel:DWORD dst_unused:UNUSED_PAD src0_sel:DWORD src1_sel:WORD_1
	v_pack_b32_f16 v33, v33, v52
	v_add_f16_e32 v52, v58, v14
	v_add_f16_e32 v58, v57, v54
	v_fma_f16 v17, v75, v47, -v17
	v_fma_f16 v18, v18, v46, -v53
	v_add_f16_e32 v58, v58, v13
	v_add_f16_e32 v53, v14, v18
	;; [unrolled: 1-line block ×5, first 2 shown]
	v_fma_f16 v53, v53, -0.5, v67
	v_fma_f16 v56, v56, -0.5, v67
	v_sub_f16_e32 v59, v34, v14
	v_sub_f16_e32 v60, v17, v18
	v_add_f16_e32 v52, v52, v17
	v_add_f16_e32 v58, v58, v15
	v_sub_f16_e32 v62, v13, v55
	v_sub_f16_e32 v65, v34, v17
	;; [unrolled: 1-line block ×5, first 2 shown]
	v_pack_b32_f16 v52, v52, v58
	v_sub_f16_e32 v58, v54, v15
	v_add_f16_e32 v14, v14, v17
	v_fma_f16 v17, v62, s8, v56
	v_fma_f16 v18, v62, s2, v56
	v_fma_f16 v17, v58, s3, v17
	v_fma_f16 v18, v58, s7, v18
	v_fma_f16 v17, v14, s6, v17
	v_fma_f16 v14, v14, s6, v18
	v_add_f16_e32 v18, v54, v15
	v_add_f16_e32 v59, v59, v60
	v_sub_f16_e32 v60, v54, v13
	v_sub_f16_e32 v61, v15, v55
	v_add_f16_e32 v63, v13, v55
	v_fma_f16 v18, v18, -0.5, v57
	v_sub_f16_e32 v13, v13, v54
	v_sub_f16_e32 v15, v55, v15
	v_add_f16_e32 v13, v13, v15
	v_fma_f16 v15, v67, s2, v18
	v_fma_f16 v18, v67, s8, v18
	;; [unrolled: 1-line block ×4, first 2 shown]
	ds_write_b32 v151, v33 offset:400
	v_mad_legacy_u16 v33, v99, s16, v152
	v_fma_f16 v15, v13, s6, v15
	v_fma_f16 v13, v13, s6, v18
	v_lshlrev_b32_e32 v152, 2, v33
	v_pack_b32_f16 v15, v17, v15
	v_pack_b32_f16 v13, v14, v13
	ds_write2_b32 v152, v15, v13 offset0:50 offset1:75
	v_lshrrev_b32_e32 v13, 16, v35
	s_waitcnt vmcnt(0)
	v_mul_f16_sdwa v15, v35, v36 dst_sel:DWORD dst_unused:UNUSED_PAD src0_sel:DWORD src1_sel:WORD_1
	v_mul_f16_sdwa v14, v13, v36 dst_sel:DWORD dst_unused:UNUSED_PAD src0_sel:DWORD src1_sel:WORD_1
	v_fma_f16 v13, v13, v36, v15
	v_lshrrev_b32_e32 v15, 16, v16
	v_mul_f16_sdwa v17, v15, v37 dst_sel:DWORD dst_unused:UNUSED_PAD src0_sel:DWORD src1_sel:WORD_1
	v_fma_f16 v17, v16, v37, -v17
	v_mul_f16_sdwa v16, v16, v37 dst_sel:DWORD dst_unused:UNUSED_PAD src0_sel:DWORD src1_sel:WORD_1
	v_fma_f16 v15, v15, v37, v16
	v_lshrrev_b32_e32 v16, 16, v19
	v_fma_f16 v63, v63, -0.5, v57
	v_mul_f16_sdwa v18, v16, v38 dst_sel:DWORD dst_unused:UNUSED_PAD src0_sel:DWORD src1_sel:WORD_1
	v_add_f16_e32 v60, v60, v61
	v_fma_f16 v61, v58, s2, v53
	v_fma_f16 v66, v65, s8, v63
	v_fma_f16 v18, v19, v38, -v18
	v_mul_f16_sdwa v19, v19, v38 dst_sel:DWORD dst_unused:UNUSED_PAD src0_sel:DWORD src1_sel:WORD_1
	v_fma_f16 v61, v62, s3, v61
	v_fma_f16 v66, v67, s7, v66
	;; [unrolled: 1-line block ×3, first 2 shown]
	v_lshrrev_b32_e32 v19, 16, v155
	v_mul_f16_sdwa v34, v155, v39 dst_sel:DWORD dst_unused:UNUSED_PAD src0_sel:DWORD src1_sel:WORD_1
	v_fma_f16 v61, v59, s6, v61
	v_fma_f16 v66, v60, s6, v66
	v_fma_f16 v14, v35, v36, -v14
	v_mul_f16_sdwa v33, v19, v39 dst_sel:DWORD dst_unused:UNUSED_PAD src0_sel:DWORD src1_sel:WORD_1
	v_fma_f16 v19, v19, v39, v34
	v_fma_f16 v34, v58, s8, v53
	;; [unrolled: 1-line block ×3, first 2 shown]
	v_pack_b32_f16 v61, v61, v66
	v_fma_f16 v33, v155, v39, -v33
	v_fma_f16 v34, v62, s7, v34
	v_fma_f16 v35, v67, s3, v35
	ds_write2_b32 v152, v52, v61 offset1:25
	v_fma_f16 v34, v59, s6, v34
	v_fma_f16 v35, v60, s6, v35
	v_add_f16_e32 v52, v17, v18
	v_add_f16_e32 v53, v14, v33
	v_lshrrev_b32_e32 v54, 16, v12
	v_fma_f16 v52, v52, -0.5, v12
	v_fma_f16 v53, v53, -0.5, v12
	v_add_f16_e32 v12, v12, v14
	v_pack_b32_f16 v34, v34, v35
	v_add_f16_e32 v35, v54, v13
	v_add_f16_e32 v12, v12, v17
	;; [unrolled: 1-line block ×5, first 2 shown]
	v_sub_f16_e32 v55, v14, v17
	v_sub_f16_e32 v56, v33, v18
	v_add_f16_e32 v12, v12, v33
	v_add_f16_e32 v35, v35, v19
	;; [unrolled: 1-line block ×4, first 2 shown]
	v_sub_f16_e32 v56, v13, v15
	v_sub_f16_e32 v57, v19, v16
	v_pack_b32_f16 v12, v12, v35
	v_sub_f16_e32 v35, v13, v19
	v_fma_f16 v59, v59, -0.5, v54
	v_sub_f16_e32 v60, v14, v33
	v_add_f16_e32 v56, v56, v57
	v_fma_f16 v57, v35, s2, v52
	v_sub_f16_e32 v58, v15, v16
	v_fma_f16 v61, v60, s8, v59
	v_sub_f16_e32 v62, v17, v18
	v_fma_f16 v57, v58, s3, v57
	v_fma_f16 v61, v62, s7, v61
	ds_write_b32 v152, v34 offset:400
	v_mad_legacy_u16 v34, v153, s16, v154
	v_fma_f16 v57, v55, s6, v57
	v_fma_f16 v61, v56, s6, v61
	v_pack_b32_f16 v57, v57, v61
	v_lshlrev_b32_e32 v153, 2, v34
	ds_write2_b32 v153, v12, v57 offset1:25
	v_sub_f16_e32 v12, v17, v14
	v_sub_f16_e32 v14, v18, v33
	v_add_f16_e32 v12, v12, v14
	v_fma_f16 v14, v58, s8, v53
	v_fma_f16 v17, v58, s2, v53
	;; [unrolled: 1-line block ×6, first 2 shown]
	v_add_f16_e32 v17, v13, v19
	v_fma_f16 v17, v17, -0.5, v54
	v_sub_f16_e32 v13, v15, v13
	v_sub_f16_e32 v15, v16, v19
	v_add_f16_e32 v13, v13, v15
	v_fma_f16 v15, v62, s2, v17
	v_fma_f16 v16, v62, s8, v17
	;; [unrolled: 1-line block ×6, first 2 shown]
	v_pack_b32_f16 v14, v14, v15
	v_pack_b32_f16 v12, v12, v13
	ds_write2_b32 v153, v14, v12 offset0:50 offset1:75
	v_fma_f16 v12, v35, s8, v52
	v_fma_f16 v13, v60, s2, v59
	;; [unrolled: 1-line block ×6, first 2 shown]
	v_pack_b32_f16 v12, v12, v13
	v_lshlrev_b32_e32 v33, 4, v80
	ds_write_b32 v153, v12 offset:400
	s_waitcnt lgkmcnt(0)
	s_barrier
	global_load_dwordx4 v[12:15], v33, s[10:11] offset:480
	v_mul_u32_u24_sdwa v16, v64, s9 dst_sel:DWORD dst_unused:UNUSED_PAD src0_sel:WORD_0 src1_sel:DWORD
	v_sub_u16_sdwa v17, v64, v16 dst_sel:DWORD dst_unused:UNUSED_PAD src0_sel:DWORD src1_sel:WORD_1
	v_lshrrev_b16_e32 v17, 1, v17
	v_add_u16_sdwa v16, v17, v16 dst_sel:DWORD dst_unused:UNUSED_PAD src0_sel:DWORD src1_sel:WORD_1
	v_mul_u32_u24_sdwa v17, v68, s9 dst_sel:DWORD dst_unused:UNUSED_PAD src0_sel:WORD_0 src1_sel:DWORD
	v_sub_u16_sdwa v18, v68, v17 dst_sel:DWORD dst_unused:UNUSED_PAD src0_sel:DWORD src1_sel:WORD_1
	v_lshrrev_b16_e32 v18, 1, v18
	v_add_u16_sdwa v56, v18, v17 dst_sel:DWORD dst_unused:UNUSED_PAD src0_sel:DWORD src1_sel:WORD_1
	v_mul_u32_u24_sdwa v17, v72, s9 dst_sel:DWORD dst_unused:UNUSED_PAD src0_sel:WORD_0 src1_sel:DWORD
	v_sub_u16_sdwa v18, v72, v17 dst_sel:DWORD dst_unused:UNUSED_PAD src0_sel:DWORD src1_sel:WORD_1
	v_lshrrev_b16_e32 v18, 1, v18
	v_lshrrev_b16_e32 v16, 6, v16
	v_add_u16_sdwa v58, v18, v17 dst_sel:DWORD dst_unused:UNUSED_PAD src0_sel:DWORD src1_sel:WORD_1
	v_mul_lo_u16_e32 v18, 0x7d, v16
	ds_read2_b32 v[16:17], v136 offset0:116 offset1:241
	v_sub_u16_e32 v65, v64, v18
	v_lshlrev_b16_e32 v18, 4, v65
	v_mov_b32_e32 v19, v77
	v_lshl_add_u64 v[34:35], s[10:11], 0, v[18:19]
	global_load_dwordx4 v[52:55], v[34:35], off offset:480
	s_waitcnt lgkmcnt(0)
	v_lshrrev_b32_e32 v57, 16, v17
	ds_read2_b32 v[18:19], v135 offset0:98 offset1:223
	ds_read2_b32 v[74:75], v133 offset0:68 offset1:193
	ds_read2_b32 v[86:87], v76 offset1:125
	v_lshrrev_b16_e32 v56, 6, v56
	v_lshrrev_b16_e32 v58, 6, v58
	v_mul_lo_u16_e32 v56, 0x7d, v56
	v_mul_lo_u16_e32 v58, 0x7d, v58
	s_waitcnt lgkmcnt(0)
	v_lshrrev_b32_e32 v156, 16, v86
	v_sub_u16_e32 v165, v68, v56
	v_sub_u16_e32 v166, v72, v58
	v_lshlrev_b16_e32 v56, 4, v165
	v_lshlrev_b16_e32 v58, 4, v166
	v_lshlrev_b32_e32 v64, 4, v64
	v_lshlrev_b32_e32 v68, 4, v68
	;; [unrolled: 1-line block ×3, first 2 shown]
	s_movk_i32 s9, 0x3000
	s_waitcnt vmcnt(1)
	v_mul_f16_sdwa v34, v17, v12 dst_sel:DWORD dst_unused:UNUSED_PAD src0_sel:DWORD src1_sel:WORD_1
	v_fma_f16 v69, v57, v12, v34
	v_mul_f16_sdwa v34, v57, v12 dst_sel:DWORD dst_unused:UNUSED_PAD src0_sel:DWORD src1_sel:WORD_1
	v_fma_f16 v17, v17, v12, -v34
	ds_read2_b32 v[34:35], v134 offset0:86 offset1:211
	v_lshrrev_b32_e32 v57, 16, v18
	v_mul_f16_sdwa v59, v18, v13 dst_sel:DWORD dst_unused:UNUSED_PAD src0_sel:DWORD src1_sel:WORD_1
	v_fma_f16 v73, v57, v13, v59
	v_mul_f16_sdwa v57, v57, v13 dst_sel:DWORD dst_unused:UNUSED_PAD src0_sel:DWORD src1_sel:WORD_1
	v_fma_f16 v18, v18, v13, -v57
	s_waitcnt lgkmcnt(0)
	v_lshrrev_b32_e32 v57, 16, v35
	v_mul_f16_sdwa v59, v35, v14 dst_sel:DWORD dst_unused:UNUSED_PAD src0_sel:DWORD src1_sel:WORD_1
	v_fma_f16 v98, v57, v14, v59
	v_mul_f16_sdwa v57, v57, v14 dst_sel:DWORD dst_unused:UNUSED_PAD src0_sel:DWORD src1_sel:WORD_1
	v_fma_f16 v35, v35, v14, -v57
	v_lshrrev_b32_e32 v57, 16, v74
	v_mul_f16_sdwa v59, v74, v15 dst_sel:DWORD dst_unused:UNUSED_PAD src0_sel:DWORD src1_sel:WORD_1
	v_fma_f16 v99, v57, v15, v59
	v_mul_f16_sdwa v57, v57, v15 dst_sel:DWORD dst_unused:UNUSED_PAD src0_sel:DWORD src1_sel:WORD_1
	v_fma_f16 v74, v74, v15, -v57
	v_sub_f16_e32 v57, v17, v18
	v_sub_f16_e32 v59, v74, v35
	v_add_f16_e32 v154, v57, v59
	v_sub_f16_e32 v57, v69, v73
	v_sub_f16_e32 v59, v99, v98
	v_add_f16_e32 v155, v57, v59
	v_add_f16_e32 v57, v86, v17
	;; [unrolled: 1-line block ×9, first 2 shown]
	v_pack_b32_f16 v157, v57, v59
	v_add_f16_e32 v57, v18, v35
	v_add_f16_e32 v59, v73, v98
	v_fma_f16 v158, v57, -0.5, v86
	v_sub_f16_e32 v159, v69, v99
	v_fma_f16 v161, v59, -0.5, v156
	v_sub_f16_e32 v162, v17, v74
	v_fma_f16 v57, v159, s2, v158
	v_sub_f16_e32 v160, v73, v98
	v_fma_f16 v59, v162, s8, v161
	;; [unrolled: 2-line block ×3, first 2 shown]
	v_fma_f16 v59, v163, s7, v59
	v_fma_f16 v57, v154, s6, v57
	;; [unrolled: 1-line block ×3, first 2 shown]
	v_pack_b32_f16 v164, v57, v59
	v_mov_b32_e32 v57, v77
	v_mov_b32_e32 v59, v77
	v_lshl_add_u64 v[56:57], s[10:11], 0, v[56:57]
	v_lshl_add_u64 v[58:59], s[10:11], 0, v[58:59]
	ds_read_b32 v167, v76 offset:12000
	ds_read2_b32 v[88:89], v131 offset0:110 offset1:235
	ds_read2_b32 v[90:91], v127 offset0:80 offset1:205
	;; [unrolled: 1-line block ×7, first 2 shown]
	global_load_dwordx4 v[60:63], v[56:57], off offset:480
	s_nop 0
	global_load_dwordx4 v[56:59], v[58:59], off offset:480
	v_sub_f16_e32 v18, v18, v17
	v_add_f16_e32 v17, v17, v74
	v_sub_f16_e32 v35, v35, v74
	v_fma_f16 v17, v17, -0.5, v86
	v_add_f16_e32 v18, v18, v35
	v_fma_f16 v35, v160, s8, v17
	v_fma_f16 v17, v160, s2, v17
	;; [unrolled: 1-line block ×6, first 2 shown]
	v_add_f16_e32 v18, v69, v99
	v_fma_f16 v18, v18, -0.5, v156
	v_sub_f16_e32 v69, v73, v69
	v_sub_f16_e32 v73, v98, v99
	v_add_f16_e32 v69, v69, v73
	v_fma_f16 v73, v163, s2, v18
	v_fma_f16 v18, v163, s8, v18
	;; [unrolled: 1-line block ×6, first 2 shown]
	v_pack_b32_f16 v35, v35, v73
	v_pack_b32_f16 v17, v17, v18
	s_waitcnt lgkmcnt(0)
	s_barrier
	ds_write2_b32 v76, v157, v164 offset1:125
	ds_write2_b32 v122, v35, v17 offset0:122 offset1:247
	v_lshrrev_b32_e32 v17, 16, v19
	v_mul_f16_sdwa v18, v17, v13 dst_sel:DWORD dst_unused:UNUSED_PAD src0_sel:DWORD src1_sel:WORD_1
	v_fma_f16 v18, v19, v13, -v18
	v_mul_f16_sdwa v19, v19, v13 dst_sel:DWORD dst_unused:UNUSED_PAD src0_sel:DWORD src1_sel:WORD_1
	v_fma_f16 v17, v17, v13, v19
	v_lshrrev_b32_e32 v19, 16, v75
	v_mul_f16_sdwa v35, v19, v15 dst_sel:DWORD dst_unused:UNUSED_PAD src0_sel:DWORD src1_sel:WORD_1
	v_fma_f16 v35, v75, v15, -v35
	v_mul_f16_sdwa v69, v75, v15 dst_sel:DWORD dst_unused:UNUSED_PAD src0_sel:DWORD src1_sel:WORD_1
	v_lshrrev_b32_e32 v74, 16, v88
	v_mul_f16_sdwa v75, v88, v12 dst_sel:DWORD dst_unused:UNUSED_PAD src0_sel:DWORD src1_sel:WORD_1
	v_lshrrev_b32_e32 v77, 16, v90
	v_mul_f16_sdwa v86, v90, v14 dst_sel:DWORD dst_unused:UNUSED_PAD src0_sel:DWORD src1_sel:WORD_1
	v_fma_f16 v75, v74, v12, v75
	v_mul_f16_sdwa v74, v74, v12 dst_sel:DWORD dst_unused:UNUSED_PAD src0_sel:DWORD src1_sel:WORD_1
	v_fma_f16 v86, v77, v14, v86
	;; [unrolled: 2-line block ×3, first 2 shown]
	v_fma_f16 v69, v159, s8, v158
	v_fma_f16 v73, v162, s2, v161
	v_fma_f16 v74, v88, v12, -v74
	v_fma_f16 v77, v90, v14, -v77
	v_fma_f16 v69, v160, s7, v69
	v_fma_f16 v73, v163, s3, v73
	v_add_f16_e32 v88, v18, v77
	v_add_f16_e32 v90, v74, v35
	v_fma_f16 v69, v154, s6, v69
	v_fma_f16 v73, v155, s6, v73
	v_fma_f16 v88, v88, -0.5, v87
	v_fma_f16 v90, v90, -0.5, v87
	v_lshrrev_b32_e32 v98, 16, v87
	v_add_f16_e32 v87, v87, v74
	v_pack_b32_f16 v69, v69, v73
	v_add_f16_e32 v73, v87, v18
	v_add_f16_e32 v87, v98, v75
	v_add_f16_e32 v87, v87, v17
	v_add_f16_e32 v73, v73, v77
	v_add_f16_e32 v87, v87, v86
	v_add_f16_e32 v73, v73, v35
	v_add_f16_e32 v87, v87, v19
	v_pack_b32_f16 v73, v73, v87
	ds_write2_b32 v136, v69, v73 offset0:116 offset1:241
	v_sub_f16_e32 v69, v74, v18
	v_sub_f16_e32 v73, v35, v77
	v_add_f16_e32 v69, v69, v73
	v_sub_f16_e32 v73, v18, v74
	v_sub_f16_e32 v87, v77, v35
	;; [unrolled: 1-line block ×6, first 2 shown]
	v_add_f16_e32 v73, v73, v87
	v_add_f16_e32 v74, v74, v77
	;; [unrolled: 1-line block ×4, first 2 shown]
	v_fma_f16 v77, v77, -0.5, v98
	v_fma_f16 v87, v87, -0.5, v98
	v_sub_f16_e32 v98, v75, v19
	v_sub_f16_e32 v75, v17, v75
	;; [unrolled: 1-line block ×4, first 2 shown]
	v_add_f16_e32 v19, v75, v19
	v_fma_f16 v75, v98, s2, v88
	v_fma_f16 v86, v35, s8, v77
	;; [unrolled: 1-line block ×6, first 2 shown]
	v_pack_b32_f16 v75, v75, v86
	v_fma_f16 v86, v17, s8, v90
	v_fma_f16 v99, v18, s2, v87
	;; [unrolled: 1-line block ×6, first 2 shown]
	v_pack_b32_f16 v86, v86, v99
	ds_write2_b32 v131, v75, v86 offset0:110 offset1:235
	v_fma_f16 v75, v98, s8, v88
	v_fma_f16 v75, v17, s7, v75
	;; [unrolled: 1-line block ×12, first 2 shown]
	v_pack_b32_f16 v17, v17, v18
	v_pack_b32_f16 v18, v69, v73
	ds_write2_b32 v113, v17, v18 offset0:104 offset1:229
	v_lshrrev_b32_e32 v17, 16, v89
	s_waitcnt vmcnt(2)
	v_mul_f16_sdwa v19, v89, v52 dst_sel:DWORD dst_unused:UNUSED_PAD src0_sel:DWORD src1_sel:WORD_1
	v_mul_f16_sdwa v18, v17, v52 dst_sel:DWORD dst_unused:UNUSED_PAD src0_sel:DWORD src1_sel:WORD_1
	v_fma_f16 v17, v17, v52, v19
	v_lshrrev_b32_e32 v19, 16, v91
	v_mul_f16_sdwa v69, v91, v54 dst_sel:DWORD dst_unused:UNUSED_PAD src0_sel:DWORD src1_sel:WORD_1
	v_mul_f16_sdwa v35, v19, v54 dst_sel:DWORD dst_unused:UNUSED_PAD src0_sel:DWORD src1_sel:WORD_1
	v_fma_f16 v19, v19, v54, v69
	v_lshrrev_b32_e32 v69, 16, v94
	v_mul_f16_sdwa v73, v94, v53 dst_sel:DWORD dst_unused:UNUSED_PAD src0_sel:DWORD src1_sel:WORD_1
	v_lshrrev_b32_e32 v74, 16, v96
	v_mul_f16_sdwa v75, v96, v55 dst_sel:DWORD dst_unused:UNUSED_PAD src0_sel:DWORD src1_sel:WORD_1
	v_fma_f16 v73, v69, v53, v73
	v_mul_f16_sdwa v69, v69, v53 dst_sel:DWORD dst_unused:UNUSED_PAD src0_sel:DWORD src1_sel:WORD_1
	v_fma_f16 v75, v74, v55, v75
	v_mul_f16_sdwa v74, v74, v55 dst_sel:DWORD dst_unused:UNUSED_PAD src0_sel:DWORD src1_sel:WORD_1
	v_fma_f16 v18, v89, v52, -v18
	v_fma_f16 v35, v91, v54, -v35
	;; [unrolled: 1-line block ×4, first 2 shown]
	v_sub_f16_e32 v77, v18, v69
	v_sub_f16_e32 v86, v74, v35
	v_add_f16_e32 v86, v77, v86
	v_sub_f16_e32 v77, v17, v73
	v_sub_f16_e32 v87, v75, v19
	v_lshrrev_b32_e32 v88, 16, v92
	v_add_f16_e32 v87, v77, v87
	v_add_f16_e32 v77, v92, v18
	;; [unrolled: 1-line block ×9, first 2 shown]
	v_pack_b32_f16 v89, v77, v89
	v_add_f16_e32 v77, v69, v35
	v_add_f16_e32 v96, v73, v19
	v_fma_f16 v90, v77, -0.5, v92
	v_sub_f16_e32 v91, v17, v75
	v_fma_f16 v96, v96, -0.5, v88
	v_sub_f16_e32 v98, v18, v74
	v_fma_f16 v77, v91, s2, v90
	v_sub_f16_e32 v94, v73, v19
	v_fma_f16 v99, v98, s8, v96
	;; [unrolled: 2-line block ×3, first 2 shown]
	v_fma_f16 v99, v162, s7, v99
	v_fma_f16 v77, v86, s6, v77
	;; [unrolled: 1-line block ×3, first 2 shown]
	v_pack_b32_f16 v99, v77, v99
	v_lshlrev_b32_e32 v77, 2, v65
	v_sub_f16_e32 v65, v69, v18
	v_add_f16_e32 v18, v18, v74
	v_sub_f16_e32 v35, v35, v74
	v_fma_f16 v18, v18, -0.5, v92
	v_add_f16_e32 v35, v65, v35
	v_fma_f16 v65, v94, s8, v18
	v_fma_f16 v18, v94, s2, v18
	v_fma_f16 v65, v91, s3, v65
	v_fma_f16 v18, v91, s7, v18
	v_fma_f16 v65, v35, s6, v65
	v_fma_f16 v18, v35, s6, v18
	v_add_f16_e32 v35, v17, v75
	v_fma_f16 v35, v35, -0.5, v88
	v_sub_f16_e32 v17, v73, v17
	v_sub_f16_e32 v19, v19, v75
	v_add_f16_e32 v17, v17, v19
	v_fma_f16 v19, v162, s2, v35
	v_fma_f16 v35, v162, s8, v35
	;; [unrolled: 1-line block ×6, first 2 shown]
	v_pack_b32_f16 v19, v65, v19
	v_pack_b32_f16 v17, v18, v17
	v_add_u32_e32 v157, 0x1600, v77
	ds_write2_b32 v157, v19, v17 offset0:92 offset1:217
	v_lshrrev_b32_e32 v17, 16, v95
	s_waitcnt vmcnt(1)
	v_mul_f16_sdwa v19, v95, v61 dst_sel:DWORD dst_unused:UNUSED_PAD src0_sel:DWORD src1_sel:WORD_1
	v_mul_f16_sdwa v18, v17, v61 dst_sel:DWORD dst_unused:UNUSED_PAD src0_sel:DWORD src1_sel:WORD_1
	v_fma_f16 v17, v17, v61, v19
	v_lshrrev_b32_e32 v19, 16, v97
	v_mul_f16_sdwa v65, v97, v63 dst_sel:DWORD dst_unused:UNUSED_PAD src0_sel:DWORD src1_sel:WORD_1
	v_mul_f16_sdwa v35, v19, v63 dst_sel:DWORD dst_unused:UNUSED_PAD src0_sel:DWORD src1_sel:WORD_1
	v_fma_f16 v19, v19, v63, v65
	v_lshrrev_b32_e32 v65, 16, v70
	v_mul_f16_sdwa v69, v70, v60 dst_sel:DWORD dst_unused:UNUSED_PAD src0_sel:DWORD src1_sel:WORD_1
	v_fma_f16 v69, v65, v60, v69
	v_mul_f16_sdwa v65, v65, v60 dst_sel:DWORD dst_unused:UNUSED_PAD src0_sel:DWORD src1_sel:WORD_1
	v_fma_f16 v65, v70, v60, -v65
	v_lshrrev_b32_e32 v70, 16, v66
	v_mul_f16_sdwa v73, v66, v62 dst_sel:DWORD dst_unused:UNUSED_PAD src0_sel:DWORD src1_sel:WORD_1
	v_fma_f16 v73, v70, v62, v73
	v_mul_f16_sdwa v70, v70, v62 dst_sel:DWORD dst_unused:UNUSED_PAD src0_sel:DWORD src1_sel:WORD_1
	v_add_u32_e32 v156, 0x1200, v77
	v_fma_f16 v18, v95, v61, -v18
	v_fma_f16 v35, v97, v63, -v35
	;; [unrolled: 1-line block ×3, first 2 shown]
	ds_write2_b32 v156, v89, v99 offset0:98 offset1:223
	v_add_f16_e32 v70, v18, v66
	v_add_f16_e32 v74, v65, v35
	v_sub_f16_e32 v89, v65, v18
	v_sub_f16_e32 v92, v35, v66
	v_fma_f16 v70, v70, -0.5, v93
	v_fma_f16 v74, v74, -0.5, v93
	v_lshrrev_b32_e32 v75, 16, v93
	v_add_f16_e32 v88, v93, v65
	v_add_f16_e32 v89, v89, v92
	v_sub_f16_e32 v92, v69, v17
	v_sub_f16_e32 v93, v19, v73
	v_add_f16_e32 v92, v92, v93
	v_add_f16_e32 v93, v75, v69
	;; [unrolled: 1-line block ×8, first 2 shown]
	v_sub_f16_e32 v97, v17, v73
	v_sub_f16_e32 v163, v65, v35
	;; [unrolled: 1-line block ×5, first 2 shown]
	v_pack_b32_f16 v88, v88, v93
	v_sub_f16_e32 v93, v69, v19
	v_add_f16_e32 v18, v18, v35
	v_fma_f16 v35, v97, s8, v74
	v_fma_f16 v65, v97, s2, v74
	v_add_f16_e32 v99, v17, v73
	v_fma_f16 v35, v93, s3, v35
	v_fma_f16 v65, v93, s7, v65
	v_fma_f16 v99, v99, -0.5, v75
	v_fma_f16 v35, v18, s6, v35
	v_fma_f16 v18, v18, s6, v65
	v_add_f16_e32 v65, v69, v19
	v_fma_f16 v95, v93, s2, v70
	v_fma_f16 v154, v163, s8, v99
	v_fma_f16 v65, v65, -0.5, v75
	v_sub_f16_e32 v17, v17, v69
	v_sub_f16_e32 v19, v73, v19
	v_fma_f16 v95, v97, s3, v95
	v_fma_f16 v154, v164, s7, v154
	v_add_f16_e32 v17, v17, v19
	v_fma_f16 v19, v164, s2, v65
	v_fma_f16 v65, v164, s8, v65
	;; [unrolled: 1-line block ×6, first 2 shown]
	v_pack_b32_f16 v95, v95, v154
	v_lshlrev_b32_e32 v154, 2, v165
	v_fma_f16 v19, v17, s6, v19
	v_fma_f16 v17, v17, s6, v65
	v_pack_b32_f16 v19, v35, v19
	v_pack_b32_f16 v17, v18, v17
	v_add_u32_e32 v158, 0x2000, v154
	ds_write2_b32 v158, v19, v17 offset0:77 offset1:202
	v_lshrrev_b32_e32 v17, 16, v71
	s_waitcnt vmcnt(0)
	v_mul_f16_sdwa v19, v71, v56 dst_sel:DWORD dst_unused:UNUSED_PAD src0_sel:DWORD src1_sel:WORD_1
	v_mul_f16_sdwa v18, v17, v56 dst_sel:DWORD dst_unused:UNUSED_PAD src0_sel:DWORD src1_sel:WORD_1
	v_fma_f16 v17, v17, v56, v19
	v_lshrrev_b32_e32 v19, 16, v34
	v_mul_f16_sdwa v35, v19, v57 dst_sel:DWORD dst_unused:UNUSED_PAD src0_sel:DWORD src1_sel:WORD_1
	v_fma_f16 v35, v34, v57, -v35
	v_mul_f16_sdwa v34, v34, v57 dst_sel:DWORD dst_unused:UNUSED_PAD src0_sel:DWORD src1_sel:WORD_1
	v_fma_f16 v19, v19, v57, v34
	v_lshrrev_b32_e32 v34, 16, v67
	v_mul_f16_sdwa v66, v67, v58 dst_sel:DWORD dst_unused:UNUSED_PAD src0_sel:DWORD src1_sel:WORD_1
	v_mul_f16_sdwa v65, v34, v58 dst_sel:DWORD dst_unused:UNUSED_PAD src0_sel:DWORD src1_sel:WORD_1
	v_fma_f16 v34, v34, v58, v66
	v_lshrrev_b32_e32 v66, 16, v167
	v_fma_f16 v65, v67, v58, -v65
	v_mul_f16_sdwa v67, v66, v59 dst_sel:DWORD dst_unused:UNUSED_PAD src0_sel:DWORD src1_sel:WORD_1
	v_fma_f16 v18, v71, v56, -v18
	v_fma_f16 v67, v167, v59, -v67
	v_mul_f16_sdwa v69, v167, v59 dst_sel:DWORD dst_unused:UNUSED_PAD src0_sel:DWORD src1_sel:WORD_1
	v_add_u32_e32 v159, 0x1c00, v154
	v_fma_f16 v66, v66, v59, v69
	v_sub_f16_e32 v74, v18, v35
	v_sub_f16_e32 v75, v67, v65
	ds_write2_b32 v159, v88, v95 offset0:83 offset1:208
	v_add_f16_e32 v69, v35, v65
	v_add_f16_e32 v71, v18, v67
	v_lshrrev_b32_e32 v73, 16, v16
	v_add_f16_e32 v74, v74, v75
	v_sub_f16_e32 v75, v17, v19
	v_sub_f16_e32 v88, v66, v34
	v_fma_f16 v69, v69, -0.5, v16
	v_fma_f16 v71, v71, -0.5, v16
	v_add_f16_e32 v16, v16, v18
	v_add_f16_e32 v75, v75, v88
	;; [unrolled: 1-line block ×10, first 2 shown]
	v_pack_b32_f16 v16, v16, v88
	v_sub_f16_e32 v88, v17, v66
	v_fma_f16 v167, v155, -0.5, v73
	v_sub_f16_e32 v168, v18, v67
	v_fma_f16 v95, v88, s2, v69
	v_sub_f16_e32 v165, v19, v34
	v_fma_f16 v155, v168, s8, v167
	;; [unrolled: 2-line block ×3, first 2 shown]
	v_fma_f16 v155, v169, s7, v155
	v_fma_f16 v95, v74, s6, v95
	;; [unrolled: 1-line block ×3, first 2 shown]
	v_pack_b32_f16 v95, v95, v155
	v_lshlrev_b32_e32 v155, 2, v166
	v_add_u32_e32 v161, 0x2600, v155
	ds_write2_b32 v161, v16, v95 offset0:68 offset1:193
	v_sub_f16_e32 v16, v35, v18
	v_sub_f16_e32 v18, v65, v67
	v_add_f16_e32 v16, v16, v18
	v_fma_f16 v18, v165, s8, v71
	v_fma_f16 v35, v165, s2, v71
	;; [unrolled: 1-line block ×6, first 2 shown]
	v_add_f16_e32 v35, v17, v66
	v_fma_f16 v35, v35, -0.5, v73
	v_sub_f16_e32 v17, v19, v17
	v_sub_f16_e32 v19, v34, v66
	v_add_f16_e32 v17, v17, v19
	v_fma_f16 v19, v169, s2, v35
	v_fma_f16 v34, v169, s8, v35
	;; [unrolled: 1-line block ×6, first 2 shown]
	v_pack_b32_f16 v18, v18, v19
	v_pack_b32_f16 v16, v16, v17
	v_add_u32_e32 v160, 0x2a00, v155
	ds_write2_b32 v160, v18, v16 offset0:62 offset1:187
	v_fma_f16 v16, v91, s8, v90
	v_fma_f16 v17, v98, s2, v96
	;; [unrolled: 1-line block ×16, first 2 shown]
	v_pack_b32_f16 v16, v16, v17
	v_fma_f16 v34, v74, s6, v34
	v_fma_f16 v35, v75, s6, v35
	ds_write_b32 v77, v16 offset:7000
	v_pack_b32_f16 v16, v18, v19
	ds_write_b32 v154, v16 offset:9500
	v_pack_b32_f16 v16, v34, v35
	ds_write_b32 v155, v16 offset:12000
	s_waitcnt lgkmcnt(0)
	s_barrier
	global_load_dwordx4 v[16:19], v33, s[10:11] offset:2480
	ds_read2_b32 v[66:67], v135 offset0:98 offset1:223
	global_load_dwordx4 v[32:35], v32, s[10:11] offset:2480
	ds_read2_b32 v[70:71], v133 offset0:68 offset1:193
	ds_read2_b32 v[86:87], v136 offset0:116 offset1:241
	;; [unrolled: 1-line block ×3, first 2 shown]
	s_waitcnt lgkmcnt(3)
	v_lshrrev_b32_e32 v65, 16, v66
	ds_read2_b32 v[164:165], v131 offset0:110 offset1:235
	ds_read2_b32 v[166:167], v127 offset0:80 offset1:205
	s_waitcnt vmcnt(1)
	v_mul_f16_sdwa v69, v66, v17 dst_sel:DWORD dst_unused:UNUSED_PAD src0_sel:DWORD src1_sel:WORD_1
	v_fma_f16 v69, v65, v17, v69
	v_mul_f16_sdwa v65, v65, v17 dst_sel:DWORD dst_unused:UNUSED_PAD src0_sel:DWORD src1_sel:WORD_1
	v_fma_f16 v90, v66, v17, -v65
	v_lshrrev_b32_e32 v65, 16, v67
	s_waitcnt vmcnt(0)
	v_mul_f16_sdwa v66, v65, v33 dst_sel:DWORD dst_unused:UNUSED_PAD src0_sel:DWORD src1_sel:WORD_1
	v_fma_f16 v74, v67, v33, -v66
	v_mul_f16_sdwa v66, v67, v33 dst_sel:DWORD dst_unused:UNUSED_PAD src0_sel:DWORD src1_sel:WORD_1
	v_fma_f16 v73, v65, v33, v66
	s_waitcnt lgkmcnt(4)
	v_lshrrev_b32_e32 v65, 16, v70
	v_mul_f16_sdwa v66, v70, v19 dst_sel:DWORD dst_unused:UNUSED_PAD src0_sel:DWORD src1_sel:WORD_1
	v_fma_f16 v91, v65, v19, v66
	v_mul_f16_sdwa v65, v65, v19 dst_sel:DWORD dst_unused:UNUSED_PAD src0_sel:DWORD src1_sel:WORD_1
	v_fma_f16 v92, v70, v19, -v65
	v_lshrrev_b32_e32 v65, 16, v71
	v_mul_f16_sdwa v66, v65, v35 dst_sel:DWORD dst_unused:UNUSED_PAD src0_sel:DWORD src1_sel:WORD_1
	v_fma_f16 v162, v71, v35, -v66
	v_mul_f16_sdwa v66, v71, v35 dst_sel:DWORD dst_unused:UNUSED_PAD src0_sel:DWORD src1_sel:WORD_1
	v_fma_f16 v75, v65, v35, v66
	s_waitcnt lgkmcnt(3)
	v_lshrrev_b32_e32 v65, 16, v87
	v_mul_f16_sdwa v66, v87, v16 dst_sel:DWORD dst_unused:UNUSED_PAD src0_sel:DWORD src1_sel:WORD_1
	v_fma_f16 v93, v65, v16, v66
	v_mul_f16_sdwa v65, v65, v16 dst_sel:DWORD dst_unused:UNUSED_PAD src0_sel:DWORD src1_sel:WORD_1
	v_fma_f16 v87, v87, v16, -v65
	s_waitcnt lgkmcnt(2)
	v_lshrrev_b32_e32 v65, 16, v89
	v_mul_f16_sdwa v66, v89, v18 dst_sel:DWORD dst_unused:UNUSED_PAD src0_sel:DWORD src1_sel:WORD_1
	ds_read2_b32 v[70:71], v76 offset1:125
	v_fma_f16 v94, v65, v18, v66
	v_mul_f16_sdwa v65, v65, v18 dst_sel:DWORD dst_unused:UNUSED_PAD src0_sel:DWORD src1_sel:WORD_1
	v_fma_f16 v89, v89, v18, -v65
	v_sub_f16_e32 v65, v87, v90
	v_sub_f16_e32 v66, v92, v89
	v_add_f16_e32 v65, v65, v66
	v_add_f16_e32 v66, v90, v89
	s_waitcnt lgkmcnt(0)
	v_fma_f16 v66, v66, -0.5, v70
	v_sub_f16_e32 v67, v93, v91
	v_fma_f16 v95, v67, s2, v66
	v_sub_f16_e32 v96, v69, v94
	v_fma_f16 v66, v67, s8, v66
	v_fma_f16 v95, v96, s3, v95
	;; [unrolled: 1-line block ×5, first 2 shown]
	v_sub_f16_e32 v65, v90, v87
	v_sub_f16_e32 v66, v89, v92
	v_add_f16_e32 v98, v65, v66
	v_add_f16_e32 v65, v87, v92
	v_fma_f16 v65, v65, -0.5, v70
	v_fma_f16 v66, v96, s8, v65
	v_fma_f16 v65, v96, s2, v65
	;; [unrolled: 1-line block ×5, first 2 shown]
	global_load_dwordx4 v[64:67], v64, s[10:11] offset:2480
	v_fma_f16 v96, v98, s6, v96
	v_add_f16_e32 v98, v70, v87
	v_add_f16_e32 v98, v98, v90
	;; [unrolled: 1-line block ×4, first 2 shown]
	v_sub_f16_e32 v87, v87, v92
	v_sub_f16_e32 v89, v90, v89
	;; [unrolled: 1-line block ×4, first 2 shown]
	v_add_f16_e32 v90, v90, v92
	v_lshrrev_b32_e32 v70, 16, v70
	v_add_f16_e32 v92, v69, v94
	v_fma_f16 v92, v92, -0.5, v70
	v_fma_f16 v163, v87, s8, v92
	v_fma_f16 v92, v87, s2, v92
	;; [unrolled: 1-line block ×6, first 2 shown]
	v_add_f16_e32 v92, v93, v91
	v_fma_f16 v92, v92, -0.5, v70
	v_add_f16_e32 v70, v70, v93
	v_add_f16_e32 v70, v70, v69
	v_add_f16_e32 v70, v70, v94
	v_sub_f16_e32 v69, v69, v93
	v_add_f16_e32 v70, v70, v91
	v_sub_f16_e32 v91, v94, v91
	v_add_f16_e32 v69, v69, v91
	v_fma_f16 v91, v89, s2, v92
	v_fma_f16 v89, v89, s8, v92
	;; [unrolled: 1-line block ×6, first 2 shown]
	v_lshrrev_b32_e32 v87, 16, v164
	v_mul_f16_sdwa v91, v164, v32 dst_sel:DWORD dst_unused:UNUSED_PAD src0_sel:DWORD src1_sel:WORD_1
	v_fma_f16 v168, v87, v32, v91
	v_mul_f16_sdwa v87, v87, v32 dst_sel:DWORD dst_unused:UNUSED_PAD src0_sel:DWORD src1_sel:WORD_1
	v_lshrrev_b32_e32 v91, 16, v166
	v_mul_f16_sdwa v92, v166, v34 dst_sel:DWORD dst_unused:UNUSED_PAD src0_sel:DWORD src1_sel:WORD_1
	v_fma_f16 v87, v164, v32, -v87
	v_fma_f16 v164, v91, v34, v92
	v_mul_f16_sdwa v91, v91, v34 dst_sel:DWORD dst_unused:UNUSED_PAD src0_sel:DWORD src1_sel:WORD_1
	v_fma_f16 v166, v166, v34, -v91
	v_add_f16_e32 v91, v74, v166
	v_fma_f16 v169, v91, -0.5, v71
	v_add_f16_e32 v91, v87, v162
	v_fma_f16 v170, v91, -0.5, v71
	v_pack_b32_f16 v91, v95, v163
	v_lshrrev_b32_e32 v163, 16, v165
	v_pack_b32_f16 v69, v96, v69
	v_pack_b32_f16 v89, v99, v89
	ds_write_b32 v76, v69 offset:7500
	v_pack_b32_f16 v69, v97, v90
	ds_write_b32 v76, v91 offset:2500
	ds_write_b32 v76, v89 offset:5000
	;; [unrolled: 1-line block ×3, first 2 shown]
	v_lshrrev_b32_e32 v171, 16, v71
	v_add_f16_e32 v71, v71, v87
	v_pack_b32_f16 v70, v98, v70
	ds_read_b32 v89, v76 offset:12000
	ds_read2_b32 v[94:95], v122 offset0:122 offset1:247
	ds_read2_b32 v[98:99], v129 offset0:92 offset1:217
	;; [unrolled: 1-line block ×5, first 2 shown]
	v_sub_f16_e32 v174, v162, v166
	v_add_f16_e32 v69, v71, v74
	v_add_f16_e32 v71, v171, v168
	v_sub_f16_e32 v175, v75, v164
	v_add_f16_e32 v71, v71, v73
	v_add_f16_e32 v69, v69, v166
	;; [unrolled: 1-line block ×5, first 2 shown]
	v_pack_b32_f16 v69, v69, v71
	ds_write2_b32 v76, v70, v69 offset1:125
	global_load_dwordx4 v[68:71], v68, s[10:11] offset:2480
	v_add_f16_e32 v182, v73, v164
	v_fma_f16 v182, v182, -0.5, v171
	v_sub_f16_e32 v183, v87, v162
	v_sub_f16_e32 v181, v73, v164
	v_fma_f16 v184, v183, s8, v182
	v_sub_f16_e32 v185, v74, v166
	s_waitcnt vmcnt(1)
	v_mul_f16_sdwa v172, v163, v64 dst_sel:DWORD dst_unused:UNUSED_PAD src0_sel:DWORD src1_sel:WORD_1
	v_fma_f16 v172, v165, v64, -v172
	v_mul_f16_sdwa v165, v165, v64 dst_sel:DWORD dst_unused:UNUSED_PAD src0_sel:DWORD src1_sel:WORD_1
	v_fma_f16 v163, v163, v64, v165
	v_lshrrev_b32_e32 v165, 16, v167
	v_mul_f16_sdwa v173, v165, v66 dst_sel:DWORD dst_unused:UNUSED_PAD src0_sel:DWORD src1_sel:WORD_1
	v_fma_f16 v173, v167, v66, -v173
	v_mul_f16_sdwa v167, v167, v66 dst_sel:DWORD dst_unused:UNUSED_PAD src0_sel:DWORD src1_sel:WORD_1
	v_fma_f16 v165, v165, v66, v167
	v_sub_f16_e32 v167, v87, v74
	v_add_f16_e32 v167, v167, v174
	v_sub_f16_e32 v174, v168, v73
	v_add_f16_e32 v174, v174, v175
	s_waitcnt lgkmcnt(4)
	v_lshrrev_b32_e32 v175, 16, v98
	v_mul_f16_sdwa v176, v98, v65 dst_sel:DWORD dst_unused:UNUSED_PAD src0_sel:DWORD src1_sel:WORD_1
	v_fma_f16 v176, v175, v65, v176
	v_mul_f16_sdwa v175, v175, v65 dst_sel:DWORD dst_unused:UNUSED_PAD src0_sel:DWORD src1_sel:WORD_1
	v_fma_f16 v98, v98, v65, -v175
	s_waitcnt lgkmcnt(3)
	v_lshrrev_b32_e32 v175, 16, v96
	v_mul_f16_sdwa v177, v96, v67 dst_sel:DWORD dst_unused:UNUSED_PAD src0_sel:DWORD src1_sel:WORD_1
	v_fma_f16 v177, v175, v67, v177
	v_mul_f16_sdwa v175, v175, v67 dst_sel:DWORD dst_unused:UNUSED_PAD src0_sel:DWORD src1_sel:WORD_1
	v_fma_f16 v96, v96, v67, -v175
	v_sub_f16_e32 v175, v172, v98
	v_sub_f16_e32 v178, v96, v173
	v_add_f16_e32 v175, v175, v178
	v_sub_f16_e32 v178, v163, v176
	v_sub_f16_e32 v179, v177, v165
	v_add_f16_e32 v178, v178, v179
	v_sub_f16_e32 v179, v168, v75
	v_fma_f16 v180, v179, s2, v169
	v_sub_f16_e32 v74, v74, v87
	v_sub_f16_e32 v87, v166, v162
	v_fma_f16 v180, v181, s3, v180
	v_fma_f16 v184, v185, s7, v184
	v_add_f16_e32 v87, v74, v87
	v_add_f16_e32 v74, v168, v75
	v_fma_f16 v180, v167, s6, v180
	v_fma_f16 v184, v174, s6, v184
	v_fma_f16 v162, v74, -0.5, v171
	v_sub_f16_e32 v73, v73, v168
	v_sub_f16_e32 v74, v164, v75
	v_pack_b32_f16 v180, v180, v184
	v_add_f16_e32 v184, v98, v173
	v_lshrrev_b32_e32 v189, 16, v94
	v_add_f16_e32 v190, v176, v165
	v_add_f16_e32 v164, v73, v74
	v_sub_f16_e32 v73, v98, v172
	v_sub_f16_e32 v74, v173, v96
	v_fma_f16 v184, v184, -0.5, v94
	v_sub_f16_e32 v186, v163, v177
	v_fma_f16 v190, v190, -0.5, v189
	v_sub_f16_e32 v191, v172, v96
	v_add_f16_e32 v166, v73, v74
	v_sub_f16_e32 v73, v176, v163
	v_sub_f16_e32 v74, v165, v177
	v_fma_f16 v187, v186, s2, v184
	v_sub_f16_e32 v188, v176, v165
	v_fma_f16 v192, v191, s8, v190
	v_sub_f16_e32 v193, v98, v173
	v_add_f16_e32 v168, v73, v74
	v_fma_f16 v73, v181, s8, v170
	v_fma_f16 v74, v185, s2, v162
	v_fma_f16 v187, v188, s3, v187
	v_fma_f16 v192, v193, s7, v192
	v_fma_f16 v73, v179, s3, v73
	v_fma_f16 v74, v183, s7, v74
	v_fma_f16 v187, v175, s6, v187
	v_fma_f16 v192, v178, s6, v192
	v_fma_f16 v73, v87, s6, v73
	v_fma_f16 v74, v164, s6, v74
	v_pack_b32_f16 v187, v187, v192
	v_pack_b32_f16 v171, v73, v74
	v_add_f16_e32 v73, v172, v96
	ds_write2_b32 v131, v180, v187 offset0:110 offset1:235
	v_fma_f16 v180, v73, -0.5, v94
	v_fma_f16 v73, v188, s8, v180
	v_fma_f16 v73, v186, s3, v73
	;; [unrolled: 1-line block ×3, first 2 shown]
	v_add_f16_e32 v73, v163, v177
	v_fma_f16 v192, v73, -0.5, v189
	global_load_dwordx4 v[72:75], v72, s[10:11] offset:2480
	v_fma_f16 v162, v185, s8, v162
	v_fma_f16 v162, v183, s3, v162
	;; [unrolled: 1-line block ×12, first 2 shown]
	v_pack_b32_f16 v87, v87, v162
	v_pack_b32_f16 v162, v164, v166
	ds_write2_b32 v127, v87, v162 offset0:80 offset1:205
	v_fma_f16 v87, v179, s8, v169
	v_fma_f16 v162, v183, s2, v182
	;; [unrolled: 1-line block ×12, first 2 shown]
	v_pack_b32_f16 v87, v87, v162
	v_pack_b32_f16 v162, v164, v166
	ds_write2_b32 v138, v87, v162 offset0:65 offset1:190
	v_lshrrev_b32_e32 v87, 16, v99
	s_waitcnt vmcnt(1)
	v_mul_f16_sdwa v162, v87, v69 dst_sel:DWORD dst_unused:UNUSED_PAD src0_sel:DWORD src1_sel:WORD_1
	v_fma_f16 v162, v99, v69, -v162
	v_mul_f16_sdwa v99, v99, v69 dst_sel:DWORD dst_unused:UNUSED_PAD src0_sel:DWORD src1_sel:WORD_1
	v_fma_f16 v87, v87, v69, v99
	v_lshrrev_b32_e32 v99, 16, v97
	v_mul_f16_sdwa v164, v99, v71 dst_sel:DWORD dst_unused:UNUSED_PAD src0_sel:DWORD src1_sel:WORD_1
	v_fma_f16 v164, v97, v71, -v164
	v_mul_f16_sdwa v97, v97, v71 dst_sel:DWORD dst_unused:UNUSED_PAD src0_sel:DWORD src1_sel:WORD_1
	v_add_f16_e32 v94, v94, v172
	v_fma_f16 v97, v99, v71, v97
	v_add_f16_e32 v94, v94, v98
	s_waitcnt lgkmcnt(5)
	v_lshrrev_b32_e32 v98, 16, v92
	v_mul_f16_sdwa v99, v92, v68 dst_sel:DWORD dst_unused:UNUSED_PAD src0_sel:DWORD src1_sel:WORD_1
	v_add_f16_e32 v94, v94, v173
	v_fma_f16 v99, v98, v68, v99
	v_mul_f16_sdwa v98, v98, v68 dst_sel:DWORD dst_unused:UNUSED_PAD src0_sel:DWORD src1_sel:WORD_1
	v_add_f16_e32 v94, v94, v96
	v_add_f16_e32 v96, v189, v163
	v_fma_f16 v92, v92, v68, -v98
	s_waitcnt lgkmcnt(4)
	v_lshrrev_b32_e32 v98, 16, v90
	v_mul_f16_sdwa v163, v90, v70 dst_sel:DWORD dst_unused:UNUSED_PAD src0_sel:DWORD src1_sel:WORD_1
	v_add_f16_e32 v96, v96, v176
	v_fma_f16 v163, v98, v70, v163
	v_mul_f16_sdwa v98, v98, v70 dst_sel:DWORD dst_unused:UNUSED_PAD src0_sel:DWORD src1_sel:WORD_1
	v_add_f16_e32 v96, v96, v165
	v_fma_f16 v90, v90, v70, -v98
	v_add_f16_e32 v96, v96, v177
	v_add_f16_e32 v98, v162, v90
	;; [unrolled: 1-line block ×3, first 2 shown]
	v_lshrrev_b32_e32 v166, 16, v95
	v_fma_f16 v98, v98, -0.5, v95
	v_fma_f16 v165, v165, -0.5, v95
	v_add_f16_e32 v95, v95, v92
	v_pack_b32_f16 v94, v94, v96
	v_add_f16_e32 v96, v166, v99
	v_add_f16_e32 v95, v95, v162
	;; [unrolled: 1-line block ×7, first 2 shown]
	v_pack_b32_f16 v95, v95, v96
	ds_write2_b32 v122, v94, v95 offset0:122 offset1:247
	v_lshrrev_b32_e32 v94, 16, v93
	v_fma_f16 v194, v193, s2, v192
	v_fma_f16 v194, v191, s7, v194
	;; [unrolled: 1-line block ×3, first 2 shown]
	v_sub_f16_e32 v169, v164, v90
	s_waitcnt vmcnt(0)
	v_mul_f16_sdwa v95, v94, v72 dst_sel:DWORD dst_unused:UNUSED_PAD src0_sel:DWORD src1_sel:WORD_1
	v_fma_f16 v95, v93, v72, -v95
	v_mul_f16_sdwa v93, v93, v72 dst_sel:DWORD dst_unused:UNUSED_PAD src0_sel:DWORD src1_sel:WORD_1
	v_fma_f16 v93, v94, v72, v93
	v_lshrrev_b32_e32 v94, 16, v88
	v_mul_f16_sdwa v96, v94, v73 dst_sel:DWORD dst_unused:UNUSED_PAD src0_sel:DWORD src1_sel:WORD_1
	v_fma_f16 v96, v88, v73, -v96
	v_mul_f16_sdwa v88, v88, v73 dst_sel:DWORD dst_unused:UNUSED_PAD src0_sel:DWORD src1_sel:WORD_1
	v_fma_f16 v88, v94, v73, v88
	v_lshrrev_b32_e32 v94, 16, v91
	;; [unrolled: 5-line block ×3, first 2 shown]
	v_mul_f16_sdwa v168, v94, v75 dst_sel:DWORD dst_unused:UNUSED_PAD src0_sel:DWORD src1_sel:WORD_1
	v_fma_f16 v168, v89, v75, -v168
	v_mul_f16_sdwa v89, v89, v75 dst_sel:DWORD dst_unused:UNUSED_PAD src0_sel:DWORD src1_sel:WORD_1
	v_fma_f16 v89, v94, v75, v89
	v_sub_f16_e32 v94, v92, v162
	v_pack_b32_f16 v187, v187, v194
	v_add_f16_e32 v94, v94, v169
	v_sub_f16_e32 v169, v99, v87
	v_sub_f16_e32 v170, v97, v163
	ds_write2_b32 v139, v171, v187 offset0:95 offset1:220
	v_add_f16_e32 v169, v169, v170
	v_sub_f16_e32 v170, v95, v96
	v_sub_f16_e32 v171, v168, v167
	v_add_f16_e32 v170, v170, v171
	v_sub_f16_e32 v171, v93, v88
	v_sub_f16_e32 v172, v89, v91
	v_add_f16_e32 v175, v87, v163
	v_add_f16_e32 v171, v171, v172
	v_sub_f16_e32 v172, v99, v97
	v_fma_f16 v175, v175, -0.5, v166
	v_sub_f16_e32 v176, v92, v164
	v_fma_f16 v173, v172, s2, v98
	v_sub_f16_e32 v174, v87, v163
	v_fma_f16 v177, v176, s8, v175
	;; [unrolled: 2-line block ×3, first 2 shown]
	v_fma_f16 v177, v178, s7, v177
	v_sub_f16_e32 v92, v162, v92
	v_sub_f16_e32 v90, v90, v164
	v_fma_f16 v173, v94, s6, v173
	v_fma_f16 v177, v169, s6, v177
	v_add_f16_e32 v90, v92, v90
	v_add_f16_e32 v92, v99, v97
	v_sub_f16_e32 v87, v87, v99
	v_sub_f16_e32 v97, v163, v97
	v_pack_b32_f16 v173, v173, v177
	v_add_f16_e32 v177, v96, v167
	v_add_f16_e32 v87, v87, v97
	v_add_f16_e32 v97, v95, v168
	v_fma_f16 v177, v177, -0.5, v86
	v_lshrrev_b32_e32 v182, 16, v86
	v_sub_f16_e32 v184, v95, v168
	v_fma_f16 v97, v97, -0.5, v86
	v_add_f16_e32 v86, v86, v95
	v_sub_f16_e32 v95, v96, v95
	v_sub_f16_e32 v99, v167, v168
	v_fma_f16 v92, v92, -0.5, v166
	v_add_f16_e32 v95, v95, v99
	v_sub_f16_e32 v99, v88, v93
	v_sub_f16_e32 v162, v91, v89
	v_add_f16_e32 v99, v99, v162
	v_fma_f16 v162, v174, s8, v165
	v_fma_f16 v163, v178, s2, v92
	;; [unrolled: 1-line block ×4, first 2 shown]
	v_add_f16_e32 v164, v93, v89
	v_sub_f16_e32 v181, v88, v91
	v_sub_f16_e32 v186, v96, v167
	v_fma_f16 v162, v90, s6, v162
	v_fma_f16 v163, v87, s6, v163
	v_fma_f16 v164, v164, -0.5, v182
	v_sub_f16_e32 v179, v93, v89
	v_pack_b32_f16 v162, v162, v163
	v_fma_f16 v163, v181, s8, v97
	v_fma_f16 v166, v186, s2, v164
	v_fma_f16 v92, v178, s8, v92
	v_fma_f16 v163, v179, s3, v163
	v_fma_f16 v166, v184, s7, v166
	v_fma_f16 v92, v176, s3, v92
	v_fma_f16 v163, v95, s6, v163
	v_fma_f16 v166, v99, s6, v166
	v_fma_f16 v87, v87, s6, v92
	v_fma_f16 v92, v181, s2, v97
	v_pack_b32_f16 v163, v163, v166
	v_fma_f16 v92, v179, s7, v92
	ds_write2_b32 v79, v162, v163 offset0:89 offset1:214
	v_fma_f16 v162, v174, s2, v165
	v_fma_f16 v92, v95, s6, v92
	;; [unrolled: 1-line block ×7, first 2 shown]
	v_pack_b32_f16 v87, v90, v87
	v_pack_b32_f16 v90, v92, v95
	v_add_f16_e32 v183, v88, v91
	ds_write2_b32 v110, v87, v90 offset0:74 offset1:199
	v_fma_f16 v87, v172, s8, v98
	v_fma_f16 v183, v183, -0.5, v182
	v_fma_f16 v87, v174, s7, v87
	v_fma_f16 v87, v94, s6, v87
	;; [unrolled: 1-line block ×11, first 2 shown]
	v_pack_b32_f16 v87, v87, v90
	v_pack_b32_f16 v90, v92, v94
	ds_write2_b32 v137, v87, v90 offset0:59 offset1:184
	v_add_f16_e32 v87, v182, v93
	v_add_f16_e32 v86, v86, v96
	;; [unrolled: 1-line block ×5, first 2 shown]
	v_fma_f16 v180, v179, s2, v177
	v_fma_f16 v185, v184, s8, v183
	v_add_f16_e32 v86, v86, v168
	v_add_f16_e32 v87, v87, v89
	v_fma_f16 v180, v181, s3, v180
	v_fma_f16 v185, v186, s7, v185
	v_pack_b32_f16 v86, v86, v87
	v_fma_f16 v180, v170, s6, v180
	v_fma_f16 v185, v171, s6, v185
	ds_write_b32 v76, v86 offset:2000
	v_add_co_u32_e32 v86, vcc, s9, v84
	v_pack_b32_f16 v180, v180, v185
	s_nop 0
	v_addc_co_u32_e32 v87, vcc, 0, v85, vcc
	ds_write2_b32 v113, v173, v180 offset0:104 offset1:229
	s_waitcnt lgkmcnt(0)
	s_barrier
	global_load_dword v92, v[86:87], off offset:212
	s_mov_b64 s[10:11], 0x30d4
	v_lshl_add_u64 v[88:89], v[84:85], 0, s[10:11]
	global_load_dword v94, v[88:89], off offset:2500
	global_load_dword v96, v[88:89], off offset:3000
	s_movk_i32 s9, 0x4000
	v_add_co_u32_e32 v90, vcc, s9, v84
	s_movk_i32 s9, 0x5000
	s_nop 0
	v_addc_co_u32_e32 v91, vcc, 0, v85, vcc
	global_load_dword v98, v[90:91], off offset:3616
	v_add_co_u32_e32 v84, vcc, s9, v84
	s_mov_b32 s9, 0xffff
	s_nop 0
	v_addc_co_u32_e32 v85, vcc, 0, v85, vcc
	global_load_dword v99, v[84:85], off offset:20
	global_load_dword v162, v[88:89], off offset:3500
	;; [unrolled: 1-line block ×4, first 2 shown]
	ds_read2_b32 v[86:87], v76 offset1:125
	global_load_dword v165, v[84:85], off offset:1020
	global_load_dword v166, v[90:91], off offset:616
	;; [unrolled: 1-line block ×8, first 2 shown]
	s_mov_b32 s10, 0x8000
	s_mul_i32 s11, s5, 0x9c4
	s_waitcnt lgkmcnt(0)
	v_lshrrev_b32_e32 v93, 16, v86
	s_waitcnt vmcnt(15)
	v_mul_f16_sdwa v90, v86, v92 dst_sel:DWORD dst_unused:UNUSED_PAD src0_sel:DWORD src1_sel:WORD_1
	v_mul_f16_sdwa v91, v93, v92 dst_sel:DWORD dst_unused:UNUSED_PAD src0_sel:DWORD src1_sel:WORD_1
	v_fma_f16 v90, v93, v92, v90
	v_fma_f16 v86, v86, v92, -v91
	v_pack_b32_f16 v86, v86, v90
	ds_write_b32 v76, v86
	global_load_dword v86, v[88:89], off offset:1500
	ds_read2_b32 v[90:91], v136 offset0:116 offset1:241
	ds_read2_b32 v[92:93], v131 offset0:110 offset1:235
	s_waitcnt lgkmcnt(1)
	v_lshrrev_b32_e32 v95, 16, v91
	s_waitcnt vmcnt(15)
	v_mul_f16_sdwa v97, v91, v94 dst_sel:DWORD dst_unused:UNUSED_PAD src0_sel:DWORD src1_sel:WORD_1
	v_fma_f16 v97, v95, v94, v97
	v_mul_f16_sdwa v95, v95, v94 dst_sel:DWORD dst_unused:UNUSED_PAD src0_sel:DWORD src1_sel:WORD_1
	v_fma_f16 v91, v91, v94, -v95
	s_waitcnt lgkmcnt(0)
	v_lshrrev_b32_e32 v94, 16, v92
	s_waitcnt vmcnt(14)
	v_mul_f16_sdwa v95, v92, v96 dst_sel:DWORD dst_unused:UNUSED_PAD src0_sel:DWORD src1_sel:WORD_1
	v_pack_b32_f16 v91, v91, v97
	v_fma_f16 v97, v94, v96, v95
	v_mul_f16_sdwa v173, v94, v96 dst_sel:DWORD dst_unused:UNUSED_PAD src0_sel:DWORD src1_sel:WORD_1
	ds_read2_b32 v[94:95], v134 offset0:86 offset1:211
	v_fma_f16 v92, v92, v96, -v173
	global_load_dword v173, v[84:85], off offset:1520
	v_pack_b32_f16 v92, v92, v97
	v_add_u32_e32 v96, 0x800, v76
	ds_write2_b32 v96, v91, v92 offset0:113 offset1:238
	ds_read2_b32 v[96:97], v127 offset0:80 offset1:205
	s_waitcnt lgkmcnt(2)
	v_lshrrev_b32_e32 v91, 16, v95
	s_waitcnt vmcnt(14)
	v_mul_f16_sdwa v92, v95, v98 dst_sel:DWORD dst_unused:UNUSED_PAD src0_sel:DWORD src1_sel:WORD_1
	v_fma_f16 v92, v91, v98, v92
	v_mul_f16_sdwa v91, v91, v98 dst_sel:DWORD dst_unused:UNUSED_PAD src0_sel:DWORD src1_sel:WORD_1
	v_fma_f16 v91, v95, v98, -v91
	v_pack_b32_f16 v91, v91, v92
	s_waitcnt lgkmcnt(0)
	v_lshrrev_b32_e32 v92, 16, v96
	global_load_dword v95, v[84:85], off offset:2020
	global_load_dword v174, v[84:85], off offset:2520
	global_load_dword v175, v[84:85], off offset:3020
	global_load_dword v176, v[84:85], off offset:3520
	s_waitcnt vmcnt(17)
	v_mul_f16_sdwa v98, v96, v99 dst_sel:DWORD dst_unused:UNUSED_PAD src0_sel:DWORD src1_sel:WORD_1
	v_fma_f16 v98, v92, v99, v98
	v_mul_f16_sdwa v92, v92, v99 dst_sel:DWORD dst_unused:UNUSED_PAD src0_sel:DWORD src1_sel:WORD_1
	v_fma_f16 v92, v96, v99, -v92
	global_load_dword v177, v[88:89], off offset:500
	v_pack_b32_f16 v92, v92, v98
	v_add_u32_e32 v96, 0x1c00, v76
	ds_read2_b32 v[98:99], v113 offset0:104 offset1:229
	ds_write2_b32 v96, v91, v92 offset0:83 offset1:208
	global_load_dword v96, v[88:89], off offset:1000
	v_lshrrev_b32_e32 v91, 16, v93
	s_waitcnt vmcnt(18)
	v_mul_f16_sdwa v92, v91, v162 dst_sel:DWORD dst_unused:UNUSED_PAD src0_sel:DWORD src1_sel:WORD_1
	v_fma_f16 v92, v93, v162, -v92
	v_mul_f16_sdwa v93, v93, v162 dst_sel:DWORD dst_unused:UNUSED_PAD src0_sel:DWORD src1_sel:WORD_1
	v_fma_f16 v91, v91, v162, v93
	v_pack_b32_f16 v91, v92, v91
	s_waitcnt lgkmcnt(1)
	v_lshrrev_b32_e32 v92, 16, v98
	s_waitcnt vmcnt(17)
	v_mul_f16_sdwa v93, v98, v163 dst_sel:DWORD dst_unused:UNUSED_PAD src0_sel:DWORD src1_sel:WORD_1
	v_fma_f16 v93, v92, v163, v93
	v_mul_f16_sdwa v92, v92, v163 dst_sel:DWORD dst_unused:UNUSED_PAD src0_sel:DWORD src1_sel:WORD_1
	v_fma_f16 v92, v98, v163, -v92
	v_pack_b32_f16 v92, v92, v93
	v_add_u32_e32 v88, 0xc00, v76
	ds_write2_b32 v88, v91, v92 offset0:107 offset1:232
	ds_read2_b32 v[88:89], v110 offset0:74 offset1:199
	v_lshrrev_b32_e32 v91, 16, v97
	s_waitcnt vmcnt(16)
	v_mul_f16_sdwa v92, v91, v164 dst_sel:DWORD dst_unused:UNUSED_PAD src0_sel:DWORD src1_sel:WORD_1
	v_mul_f16_sdwa v93, v97, v164 dst_sel:DWORD dst_unused:UNUSED_PAD src0_sel:DWORD src1_sel:WORD_1
	v_fma_f16 v92, v97, v164, -v92
	v_fma_f16 v91, v91, v164, v93
	v_pack_b32_f16 v91, v92, v91
	s_waitcnt lgkmcnt(0)
	v_lshrrev_b32_e32 v92, 16, v88
	s_waitcnt vmcnt(15)
	v_mul_f16_sdwa v93, v88, v165 dst_sel:DWORD dst_unused:UNUSED_PAD src0_sel:DWORD src1_sel:WORD_1
	v_fma_f16 v93, v92, v165, v93
	v_mul_f16_sdwa v92, v92, v165 dst_sel:DWORD dst_unused:UNUSED_PAD src0_sel:DWORD src1_sel:WORD_1
	v_fma_f16 v88, v88, v165, -v92
	v_pack_b32_f16 v88, v88, v93
	v_add_u32_e32 v92, 0x2000, v76
	ds_write2_b32 v92, v91, v88 offset0:77 offset1:202
	ds_read2_b32 v[92:93], v122 offset0:122 offset1:247
	v_lshrrev_b32_e32 v88, 16, v90
	s_waitcnt vmcnt(8)
	v_mul_f16_sdwa v91, v88, v172 dst_sel:DWORD dst_unused:UNUSED_PAD src0_sel:DWORD src1_sel:WORD_1
	v_fma_f16 v91, v90, v172, -v91
	v_mul_f16_sdwa v90, v90, v172 dst_sel:DWORD dst_unused:UNUSED_PAD src0_sel:DWORD src1_sel:WORD_1
	v_fma_f16 v88, v88, v172, v90
	s_waitcnt lgkmcnt(0)
	v_lshrrev_b32_e32 v90, 16, v93
	v_pack_b32_f16 v88, v91, v88
	s_waitcnt vmcnt(7)
	v_mul_f16_sdwa v97, v93, v86 dst_sel:DWORD dst_unused:UNUSED_PAD src0_sel:DWORD src1_sel:WORD_1
	v_fma_f16 v97, v90, v86, v97
	v_mul_f16_sdwa v90, v90, v86 dst_sel:DWORD dst_unused:UNUSED_PAD src0_sel:DWORD src1_sel:WORD_1
	v_fma_f16 v86, v93, v86, -v90
	v_pack_b32_f16 v86, v86, v97
	v_add_u32_e32 v90, 0x400, v76
	ds_write2_b32 v90, v86, v88 offset0:119 offset1:244
	ds_read2_b32 v[90:91], v135 offset0:98 offset1:223
	v_lshrrev_b32_e32 v86, 16, v99
	v_mul_f16_sdwa v93, v99, v166 dst_sel:DWORD dst_unused:UNUSED_PAD src0_sel:DWORD src1_sel:WORD_1
	v_mul_f16_sdwa v88, v86, v166 dst_sel:DWORD dst_unused:UNUSED_PAD src0_sel:DWORD src1_sel:WORD_1
	v_fma_f16 v86, v86, v166, v93
	s_waitcnt lgkmcnt(0)
	v_lshrrev_b32_e32 v93, 16, v90
	v_mul_f16_sdwa v97, v90, v167 dst_sel:DWORD dst_unused:UNUSED_PAD src0_sel:DWORD src1_sel:WORD_1
	v_fma_f16 v97, v93, v167, v97
	v_mul_f16_sdwa v93, v93, v167 dst_sel:DWORD dst_unused:UNUSED_PAD src0_sel:DWORD src1_sel:WORD_1
	v_fma_f16 v90, v90, v167, -v93
	global_load_dword v93, v[84:85], off offset:4020
	v_fma_f16 v88, v99, v166, -v88
	v_pack_b32_f16 v90, v90, v97
	v_pack_b32_f16 v84, v88, v86
	v_add_u32_e32 v85, 0x1000, v76
	ds_write2_b32 v85, v84, v90 offset0:101 offset1:226
	ds_read2_b32 v[84:85], v133 offset0:68 offset1:193
	v_lshrrev_b32_e32 v86, 16, v89
	s_waitcnt vmcnt(7)
	v_mul_f16_sdwa v88, v86, v173 dst_sel:DWORD dst_unused:UNUSED_PAD src0_sel:DWORD src1_sel:WORD_1
	v_fma_f16 v88, v89, v173, -v88
	v_mul_f16_sdwa v89, v89, v173 dst_sel:DWORD dst_unused:UNUSED_PAD src0_sel:DWORD src1_sel:WORD_1
	v_fma_f16 v86, v86, v173, v89
	s_waitcnt lgkmcnt(0)
	v_lshrrev_b32_e32 v89, 16, v84
	s_waitcnt vmcnt(6)
	v_mul_f16_sdwa v90, v84, v95 dst_sel:DWORD dst_unused:UNUSED_PAD src0_sel:DWORD src1_sel:WORD_1
	v_fma_f16 v90, v89, v95, v90
	v_mul_f16_sdwa v89, v89, v95 dst_sel:DWORD dst_unused:UNUSED_PAD src0_sel:DWORD src1_sel:WORD_1
	v_fma_f16 v84, v84, v95, -v89
	v_pack_b32_f16 v84, v84, v90
	v_pack_b32_f16 v86, v88, v86
	v_add_u32_e32 v88, 0x2400, v76
	ds_write2_b32 v88, v86, v84 offset0:71 offset1:196
	v_lshrrev_b32_e32 v84, 16, v87
	s_waitcnt vmcnt(2)
	v_mul_f16_sdwa v86, v84, v177 dst_sel:DWORD dst_unused:UNUSED_PAD src0_sel:DWORD src1_sel:WORD_1
	v_fma_f16 v86, v87, v177, -v86
	v_mul_f16_sdwa v87, v87, v177 dst_sel:DWORD dst_unused:UNUSED_PAD src0_sel:DWORD src1_sel:WORD_1
	v_fma_f16 v87, v84, v177, v87
	v_lshrrev_b32_e32 v84, 16, v91
	v_mul_f16_sdwa v89, v91, v168 dst_sel:DWORD dst_unused:UNUSED_PAD src0_sel:DWORD src1_sel:WORD_1
	v_mul_f16_sdwa v88, v84, v168 dst_sel:DWORD dst_unused:UNUSED_PAD src0_sel:DWORD src1_sel:WORD_1
	v_fma_f16 v89, v84, v168, v89
	v_lshrrev_b32_e32 v84, 16, v85
	v_mul_f16_sdwa v90, v84, v174 dst_sel:DWORD dst_unused:UNUSED_PAD src0_sel:DWORD src1_sel:WORD_1
	v_fma_f16 v90, v85, v174, -v90
	v_mul_f16_sdwa v85, v85, v174 dst_sel:DWORD dst_unused:UNUSED_PAD src0_sel:DWORD src1_sel:WORD_1
	v_fma_f16 v88, v91, v168, -v88
	v_fma_f16 v91, v84, v174, v85
	v_lshrrev_b32_e32 v84, 16, v92
	s_waitcnt vmcnt(1)
	v_mul_f16_sdwa v85, v84, v96 dst_sel:DWORD dst_unused:UNUSED_PAD src0_sel:DWORD src1_sel:WORD_1
	v_fma_f16 v95, v92, v96, -v85
	v_mul_f16_sdwa v85, v92, v96 dst_sel:DWORD dst_unused:UNUSED_PAD src0_sel:DWORD src1_sel:WORD_1
	v_fma_f16 v92, v84, v96, v85
	ds_read2_b32 v[84:85], v129 offset0:92 offset1:217
	v_pack_b32_f16 v86, v86, v87
	v_pack_b32_f16 v87, v95, v92
	ds_write2_b32 v76, v86, v87 offset0:125 offset1:250
	v_pack_b32_f16 v88, v88, v89
	s_waitcnt lgkmcnt(1)
	v_lshrrev_b32_e32 v86, 16, v84
	v_mul_f16_sdwa v87, v84, v169 dst_sel:DWORD dst_unused:UNUSED_PAD src0_sel:DWORD src1_sel:WORD_1
	v_fma_f16 v89, v86, v169, v87
	v_mul_f16_sdwa v92, v86, v169 dst_sel:DWORD dst_unused:UNUSED_PAD src0_sel:DWORD src1_sel:WORD_1
	ds_read2_b32 v[86:87], v124 offset0:62 offset1:187
	v_fma_f16 v84, v84, v169, -v92
	v_pack_b32_f16 v84, v84, v89
	ds_write2_b32 v139, v88, v84 offset0:95 offset1:220
	v_pack_b32_f16 v84, v90, v91
	s_waitcnt lgkmcnt(1)
	v_lshrrev_b32_e32 v88, 16, v86
	v_mul_f16_sdwa v89, v86, v175 dst_sel:DWORD dst_unused:UNUSED_PAD src0_sel:DWORD src1_sel:WORD_1
	v_fma_f16 v89, v88, v175, v89
	v_mul_f16_sdwa v88, v88, v175 dst_sel:DWORD dst_unused:UNUSED_PAD src0_sel:DWORD src1_sel:WORD_1
	v_fma_f16 v86, v86, v175, -v88
	v_pack_b32_f16 v86, v86, v89
	ds_write2_b32 v138, v84, v86 offset0:65 offset1:190
	v_lshrrev_b32_e32 v84, 16, v85
	v_mul_f16_sdwa v86, v84, v170 dst_sel:DWORD dst_unused:UNUSED_PAD src0_sel:DWORD src1_sel:WORD_1
	v_fma_f16 v86, v85, v170, -v86
	v_mul_f16_sdwa v85, v85, v170 dst_sel:DWORD dst_unused:UNUSED_PAD src0_sel:DWORD src1_sel:WORD_1
	v_fma_f16 v84, v84, v170, v85
	v_lshrrev_b32_e32 v85, 16, v87
	v_mul_f16_sdwa v88, v85, v176 dst_sel:DWORD dst_unused:UNUSED_PAD src0_sel:DWORD src1_sel:WORD_1
	v_fma_f16 v88, v87, v176, -v88
	v_mul_f16_sdwa v87, v87, v176 dst_sel:DWORD dst_unused:UNUSED_PAD src0_sel:DWORD src1_sel:WORD_1
	ds_read_b32 v91, v76 offset:12000
	v_fma_f16 v85, v85, v176, v87
	v_lshrrev_b32_e32 v87, 16, v94
	v_mul_f16_sdwa v89, v87, v171 dst_sel:DWORD dst_unused:UNUSED_PAD src0_sel:DWORD src1_sel:WORD_1
	v_mul_f16_sdwa v90, v94, v171 dst_sel:DWORD dst_unused:UNUSED_PAD src0_sel:DWORD src1_sel:WORD_1
	v_fma_f16 v89, v94, v171, -v89
	v_fma_f16 v87, v87, v171, v90
	v_pack_b32_f16 v84, v86, v84
	v_pack_b32_f16 v86, v89, v87
	ds_write2_b32 v79, v84, v86 offset0:89 offset1:214
	s_waitcnt lgkmcnt(1)
	v_lshrrev_b32_e32 v84, 16, v91
	s_waitcnt vmcnt(0)
	v_mul_f16_sdwa v86, v84, v93 dst_sel:DWORD dst_unused:UNUSED_PAD src0_sel:DWORD src1_sel:WORD_1
	v_mul_f16_sdwa v87, v91, v93 dst_sel:DWORD dst_unused:UNUSED_PAD src0_sel:DWORD src1_sel:WORD_1
	v_fma_f16 v86, v91, v93, -v86
	v_fma_f16 v84, v84, v93, v87
	v_pack_b32_f16 v85, v88, v85
	v_pack_b32_f16 v84, v86, v84
	ds_write2_b32 v137, v85, v84 offset0:59 offset1:184
	s_waitcnt lgkmcnt(0)
	s_barrier
	ds_read2_b32 v[84:85], v135 offset0:98 offset1:223
	ds_read2_b32 v[86:87], v136 offset0:116 offset1:241
	;; [unrolled: 1-line block ×4, first 2 shown]
	ds_read2_b32 v[92:93], v76 offset1:125
	s_waitcnt lgkmcnt(3)
	v_pk_add_f16 v94, v87, v84 neg_lo:[0,1] neg_hi:[0,1]
	s_waitcnt lgkmcnt(2)
	v_pk_add_f16 v171, v87, v88 neg_lo:[0,1] neg_hi:[0,1]
	;; [unrolled: 2-line block ×3, first 2 shown]
	v_pk_add_f16 v172, v84, v91 neg_lo:[0,1] neg_hi:[0,1]
	v_pk_add_f16 v170, v94, v95
	v_pk_add_f16 v94, v84, v91
	v_pk_mul_f16 v95, v171, s2 op_sel_hi:[1,0]
	s_waitcnt lgkmcnt(0)
	v_pk_fma_f16 v94, v94, 0.5, v92 op_sel_hi:[1,0,1] neg_lo:[1,0,0] neg_hi:[1,0,0]
	s_nop 0
	v_pk_add_f16 v96, v94, v95 op_sel:[0,1] op_sel_hi:[1,0]
	v_pk_add_f16 v94, v94, v95 op_sel:[0,1] op_sel_hi:[1,0] neg_lo:[0,1] neg_hi:[0,1]
	v_pk_mul_f16 v95, v172, s3 op_sel_hi:[1,0]
	s_nop 0
	v_pk_add_f16 v174, v94, v95 op_sel:[0,1] op_sel_hi:[1,0] neg_lo:[0,1] neg_hi:[0,1]
	v_pk_add_f16 v94, v92, v87
	v_pk_add_f16 v173, v96, v95 op_sel:[0,1] op_sel_hi:[1,0]
	v_pk_add_f16 v94, v94, v84
	v_pk_add_f16 v84, v84, v87 neg_lo:[0,1] neg_hi:[0,1]
	v_pk_add_f16 v94, v94, v91
	v_pk_add_f16 v87, v87, v88
	;; [unrolled: 1-line block ×3, first 2 shown]
	v_pk_add_f16 v91, v91, v88 neg_lo:[0,1] neg_hi:[0,1]
	v_pk_fma_f16 v87, v87, 0.5, v92 op_sel_hi:[1,0,1] neg_lo:[1,0,0] neg_hi:[1,0,0]
	v_pk_mul_f16 v88, v172, s2 op_sel_hi:[1,0]
	v_pk_add_f16 v84, v84, v91
	v_pk_add_f16 v91, v87, v88 op_sel:[0,1] op_sel_hi:[1,0] neg_lo:[0,1] neg_hi:[0,1]
	v_pk_add_f16 v87, v87, v88 op_sel:[0,1] op_sel_hi:[1,0]
	v_pk_mul_f16 v88, v171, s3 op_sel_hi:[1,0]
	ds_read_b32 v176, v76 offset:12000
	ds_read2_b32 v[94:95], v131 offset0:110 offset1:235
	ds_read2_b32 v[96:97], v127 offset0:80 offset1:205
	;; [unrolled: 1-line block ×7, first 2 shown]
	v_pk_add_f16 v87, v87, v88 op_sel:[0,1] op_sel_hi:[1,0] neg_lo:[0,1] neg_hi:[0,1]
	v_pk_add_f16 v88, v91, v88 op_sel:[0,1] op_sel_hi:[1,0]
	v_bfi_b32 v91, s9, v173, v174
	v_bfi_b32 v92, s9, v88, v87
	;; [unrolled: 1-line block ×3, first 2 shown]
	v_pk_fma_f16 v92, v84, s6, v92 op_sel_hi:[1,0,1]
	v_pk_fma_f16 v84, v84, s6, v87 op_sel_hi:[1,0,1]
	s_waitcnt lgkmcnt(0)
	s_barrier
	v_pk_fma_f16 v91, v170, s6, v91 op_sel_hi:[1,0,1]
	ds_write_b32 v140, v84 offset:8
	v_pk_add_f16 v84, v94, v85 neg_lo:[0,1] neg_hi:[0,1]
	v_pk_add_f16 v87, v89, v96 neg_lo:[0,1] neg_hi:[0,1]
	v_bfi_b32 v177, s9, v174, v173
	ds_write2_b32 v140, v92, v91 offset0:3 offset1:4
	v_pk_add_f16 v84, v84, v87
	v_pk_add_f16 v87, v85, v96
	;; [unrolled: 1-line block ×3, first 2 shown]
	v_pk_add_f16 v92, v94, v89 neg_lo:[0,1] neg_hi:[0,1]
	v_pk_fma_f16 v177, v170, s6, v177 op_sel_hi:[1,0,1]
	v_pk_fma_f16 v87, v87, 0.5, v93 op_sel_hi:[1,0,1] neg_lo:[1,0,0] neg_hi:[1,0,0]
	v_pk_fma_f16 v88, v88, 0.5, v93 op_sel_hi:[1,0,1] neg_lo:[1,0,0] neg_hi:[1,0,0]
	v_pk_add_f16 v91, v93, v94
	v_pk_mul_f16 v93, v92, s2 op_sel_hi:[1,0]
	ds_write2_b32 v140, v175, v177 offset1:1
	v_pk_add_f16 v140, v87, v93 op_sel:[0,1] op_sel_hi:[1,0]
	v_pk_add_f16 v87, v87, v93 op_sel:[0,1] op_sel_hi:[1,0] neg_lo:[0,1] neg_hi:[0,1]
	v_pk_add_f16 v93, v85, v96 neg_lo:[0,1] neg_hi:[0,1]
	v_pk_add_f16 v91, v91, v85
	v_pk_mul_f16 v170, v93, s3 op_sel_hi:[1,0]
	v_pk_add_f16 v91, v91, v96
	v_pk_add_f16 v140, v140, v170 op_sel:[0,1] op_sel_hi:[1,0]
	v_pk_add_f16 v87, v87, v170 op_sel:[0,1] op_sel_hi:[1,0] neg_lo:[0,1] neg_hi:[0,1]
	v_pk_add_f16 v91, v91, v89
	v_bfi_b32 v170, s9, v87, v140
	v_pk_add_f16 v85, v85, v94 neg_lo:[0,1] neg_hi:[0,1]
	v_pk_add_f16 v89, v96, v89 neg_lo:[0,1] neg_hi:[0,1]
	v_pk_fma_f16 v170, v84, s6, v170 op_sel_hi:[1,0,1]
	v_pk_add_f16 v85, v85, v89
	v_pk_mul_f16 v89, v93, s2 op_sel_hi:[1,0]
	ds_write2_b32 v141, v91, v170 offset1:1
	v_pk_add_f16 v91, v88, v89 op_sel:[0,1] op_sel_hi:[1,0] neg_lo:[0,1] neg_hi:[0,1]
	v_pk_add_f16 v88, v88, v89 op_sel:[0,1] op_sel_hi:[1,0]
	v_pk_mul_f16 v89, v92, s3 op_sel_hi:[1,0]
	v_bfi_b32 v87, s9, v140, v87
	v_pk_add_f16 v88, v88, v89 op_sel:[0,1] op_sel_hi:[1,0] neg_lo:[0,1] neg_hi:[0,1]
	v_pk_add_f16 v89, v91, v89 op_sel:[0,1] op_sel_hi:[1,0]
	v_pk_fma_f16 v84, v84, s6, v87 op_sel_hi:[1,0,1]
	v_bfi_b32 v87, s9, v89, v88
	v_pk_fma_f16 v87, v85, s6, v87 op_sel_hi:[1,0,1]
	ds_write2_b32 v141, v87, v84 offset0:3 offset1:4
	v_bfi_b32 v84, s9, v88, v89
	v_pk_fma_f16 v84, v85, s6, v84 op_sel_hi:[1,0,1]
	ds_write_b32 v141, v84 offset:8
	v_pk_add_f16 v84, v95, v162 neg_lo:[0,1] neg_hi:[0,1]
	v_pk_add_f16 v85, v164, v97 neg_lo:[0,1] neg_hi:[0,1]
	;; [unrolled: 1-line block ×3, first 2 shown]
	v_pk_add_f16 v84, v84, v85
	v_pk_add_f16 v85, v162, v97
	v_pk_mul_f16 v88, v87, s2 op_sel_hi:[1,0]
	v_pk_fma_f16 v85, v85, 0.5, v98 op_sel_hi:[1,0,1] neg_lo:[1,0,0] neg_hi:[1,0,0]
	v_pk_add_f16 v93, v97, v164 neg_lo:[0,1] neg_hi:[0,1]
	v_pk_add_f16 v89, v85, v88 op_sel:[0,1] op_sel_hi:[1,0]
	v_pk_add_f16 v85, v85, v88 op_sel:[0,1] op_sel_hi:[1,0] neg_lo:[0,1] neg_hi:[0,1]
	v_pk_add_f16 v88, v162, v97 neg_lo:[0,1] neg_hi:[0,1]
	v_pk_mul_f16 v87, v87, s3 op_sel_hi:[1,0]
	v_pk_mul_f16 v91, v88, s3 op_sel_hi:[1,0]
	;; [unrolled: 1-line block ×3, first 2 shown]
	v_pk_add_f16 v89, v89, v91 op_sel:[0,1] op_sel_hi:[1,0]
	v_pk_add_f16 v85, v85, v91 op_sel:[0,1] op_sel_hi:[1,0] neg_lo:[0,1] neg_hi:[0,1]
	v_pk_add_f16 v91, v98, v95
	v_bfi_b32 v92, s9, v85, v89
	v_pk_add_f16 v91, v91, v162
	v_pk_fma_f16 v92, v84, s6, v92 op_sel_hi:[1,0,1]
	v_pk_add_f16 v91, v91, v97
	v_bfi_b32 v85, s9, v89, v85
	v_pk_add_f16 v91, v91, v164
	ds_write2_b32 v142, v91, v92 offset1:1
	v_pk_add_f16 v91, v95, v164
	v_pk_add_f16 v92, v162, v95 neg_lo:[0,1] neg_hi:[0,1]
	v_pk_fma_f16 v91, v91, 0.5, v98 op_sel_hi:[1,0,1] neg_lo:[1,0,0] neg_hi:[1,0,0]
	v_pk_add_f16 v92, v92, v93
	v_pk_add_f16 v93, v91, v88 op_sel:[0,1] op_sel_hi:[1,0] neg_lo:[0,1] neg_hi:[0,1]
	v_pk_add_f16 v88, v91, v88 op_sel:[0,1] op_sel_hi:[1,0]
	v_pk_fma_f16 v84, v84, s6, v85 op_sel_hi:[1,0,1]
	v_pk_add_f16 v88, v88, v87 op_sel:[0,1] op_sel_hi:[1,0] neg_lo:[0,1] neg_hi:[0,1]
	v_pk_add_f16 v87, v93, v87 op_sel:[0,1] op_sel_hi:[1,0]
	v_pk_add_f16 v89, v166, v165 neg_lo:[0,1] neg_hi:[0,1]
	v_bfi_b32 v85, s9, v87, v88
	v_pk_fma_f16 v85, v92, s6, v85 op_sel_hi:[1,0,1]
	ds_write2_b32 v142, v85, v84 offset0:3 offset1:4
	v_bfi_b32 v84, s9, v88, v87
	v_pk_fma_f16 v84, v92, s6, v84 op_sel_hi:[1,0,1]
	ds_write_b32 v142, v84 offset:8
	v_pk_add_f16 v84, v166, v163 neg_lo:[0,1] neg_hi:[0,1]
	v_pk_add_f16 v85, v165, v168 neg_lo:[0,1] neg_hi:[0,1]
	v_pk_mul_f16 v91, v89, s2 op_sel_hi:[1,0]
	v_pk_add_f16 v84, v84, v85
	v_pk_add_f16 v85, v163, v168
	;; [unrolled: 1-line block ×3, first 2 shown]
	v_pk_fma_f16 v85, v85, 0.5, v99 op_sel_hi:[1,0,1] neg_lo:[1,0,0] neg_hi:[1,0,0]
	v_pk_add_f16 v88, v88, v163
	v_pk_add_f16 v92, v85, v91 op_sel:[0,1] op_sel_hi:[1,0]
	v_pk_add_f16 v85, v85, v91 op_sel:[0,1] op_sel_hi:[1,0] neg_lo:[0,1] neg_hi:[0,1]
	v_pk_add_f16 v91, v163, v168 neg_lo:[0,1] neg_hi:[0,1]
	v_pk_add_f16 v88, v88, v168
	v_pk_mul_f16 v93, v91, s3 op_sel_hi:[1,0]
	v_pk_add_f16 v87, v166, v165
	v_pk_add_f16 v92, v92, v93 op_sel:[0,1] op_sel_hi:[1,0]
	v_pk_add_f16 v85, v85, v93 op_sel:[0,1] op_sel_hi:[1,0] neg_lo:[0,1] neg_hi:[0,1]
	v_pk_add_f16 v88, v88, v165
	v_bfi_b32 v93, s9, v85, v92
	v_pk_fma_f16 v93, v84, s6, v93 op_sel_hi:[1,0,1]
	v_pk_fma_f16 v87, v87, 0.5, v99 op_sel_hi:[1,0,1] neg_lo:[1,0,0] neg_hi:[1,0,0]
	ds_write2_b32 v143, v88, v93 offset1:1
	v_pk_add_f16 v88, v163, v166 neg_lo:[0,1] neg_hi:[0,1]
	v_pk_add_f16 v93, v168, v165 neg_lo:[0,1] neg_hi:[0,1]
	v_pk_mul_f16 v91, v91, s2 op_sel_hi:[1,0]
	v_pk_add_f16 v88, v88, v93
	v_pk_add_f16 v93, v87, v91 op_sel:[0,1] op_sel_hi:[1,0] neg_lo:[0,1] neg_hi:[0,1]
	v_pk_add_f16 v87, v87, v91 op_sel:[0,1] op_sel_hi:[1,0]
	v_pk_mul_f16 v89, v89, s3 op_sel_hi:[1,0]
	v_bfi_b32 v85, s9, v92, v85
	v_pk_add_f16 v87, v87, v89 op_sel:[0,1] op_sel_hi:[1,0] neg_lo:[0,1] neg_hi:[0,1]
	v_pk_add_f16 v89, v93, v89 op_sel:[0,1] op_sel_hi:[1,0]
	v_pk_fma_f16 v84, v84, s6, v85 op_sel_hi:[1,0,1]
	v_bfi_b32 v85, s9, v89, v87
	v_pk_fma_f16 v85, v88, s6, v85 op_sel_hi:[1,0,1]
	ds_write2_b32 v143, v85, v84 offset0:3 offset1:4
	v_bfi_b32 v84, s9, v87, v89
	v_pk_fma_f16 v84, v88, s6, v84 op_sel_hi:[1,0,1]
	ds_write_b32 v143, v84 offset:8
	v_pk_add_f16 v84, v90, v169
	v_pk_add_f16 v85, v167, v176
	v_pk_fma_f16 v84, v84, 0.5, v86 op_sel_hi:[1,0,1] neg_lo:[1,0,0] neg_hi:[1,0,0]
	v_pk_fma_f16 v85, v85, 0.5, v86 op_sel_hi:[1,0,1] neg_lo:[1,0,0] neg_hi:[1,0,0]
	v_pk_add_f16 v86, v86, v167
	v_pk_add_f16 v87, v90, v169 neg_lo:[0,1] neg_hi:[0,1]
	v_pk_add_f16 v86, v86, v90
	v_pk_add_f16 v88, v167, v90 neg_lo:[0,1] neg_hi:[0,1]
	v_pk_add_f16 v89, v90, v167 neg_lo:[0,1] neg_hi:[0,1]
	;; [unrolled: 1-line block ×4, first 2 shown]
	v_pk_add_f16 v86, v86, v169
	v_pk_add_f16 v88, v88, v91
	v_pk_mul_f16 v91, v90, s2 op_sel_hi:[1,0]
	v_pk_add_f16 v92, v169, v176 neg_lo:[0,1] neg_hi:[0,1]
	v_pk_add_f16 v93, v84, v91 op_sel:[0,1] op_sel_hi:[1,0]
	v_pk_add_f16 v84, v84, v91 op_sel:[0,1] op_sel_hi:[1,0] neg_lo:[0,1] neg_hi:[0,1]
	v_pk_mul_f16 v91, v87, s3 op_sel_hi:[1,0]
	v_pk_add_f16 v86, v86, v176
	v_pk_add_f16 v93, v93, v91 op_sel:[0,1] op_sel_hi:[1,0]
	v_pk_add_f16 v84, v84, v91 op_sel:[0,1] op_sel_hi:[1,0] neg_lo:[0,1] neg_hi:[0,1]
	v_pk_mul_f16 v87, v87, s2 op_sel_hi:[1,0]
	v_bfi_b32 v91, s9, v84, v93
	v_pk_fma_f16 v91, v88, s6, v91 op_sel_hi:[1,0,1]
	ds_write2_b32 v144, v86, v91 offset1:1
	v_pk_add_f16 v86, v89, v92
	v_pk_add_f16 v89, v85, v87 op_sel:[0,1] op_sel_hi:[1,0] neg_lo:[0,1] neg_hi:[0,1]
	v_pk_add_f16 v85, v85, v87 op_sel:[0,1] op_sel_hi:[1,0]
	v_pk_mul_f16 v87, v90, s3 op_sel_hi:[1,0]
	v_bfi_b32 v84, s9, v93, v84
	v_pk_add_f16 v85, v85, v87 op_sel:[0,1] op_sel_hi:[1,0] neg_lo:[0,1] neg_hi:[0,1]
	v_pk_add_f16 v87, v89, v87 op_sel:[0,1] op_sel_hi:[1,0]
	v_pk_fma_f16 v84, v88, s6, v84 op_sel_hi:[1,0,1]
	v_bfi_b32 v88, s9, v87, v85
	v_pk_fma_f16 v88, v86, s6, v88 op_sel_hi:[1,0,1]
	ds_write2_b32 v144, v88, v84 offset0:3 offset1:4
	v_bfi_b32 v84, s9, v85, v87
	v_pk_fma_f16 v84, v86, s6, v84 op_sel_hi:[1,0,1]
	ds_write_b32 v144, v84 offset:8
	s_waitcnt lgkmcnt(0)
	s_barrier
	ds_read2_b32 v[86:87], v131 offset0:110 offset1:235
	ds_read2_b32 v[142:143], v135 offset0:98 offset1:223
	;; [unrolled: 1-line block ×5, first 2 shown]
	s_waitcnt lgkmcnt(4)
	v_lshrrev_b32_e32 v84, 16, v86
	v_mul_f16_sdwa v85, v4, v86 dst_sel:DWORD dst_unused:UNUSED_PAD src0_sel:WORD_1 src1_sel:DWORD
	v_fma_f16 v91, v4, v84, -v85
	v_mul_f16_sdwa v84, v4, v84 dst_sel:DWORD dst_unused:UNUSED_PAD src0_sel:WORD_1 src1_sel:DWORD
	v_fma_f16 v95, v4, v86, v84
	s_waitcnt lgkmcnt(3)
	v_lshrrev_b32_e32 v4, 16, v143
	v_mul_f16_sdwa v84, v5, v143 dst_sel:DWORD dst_unused:UNUSED_PAD src0_sel:WORD_1 src1_sel:DWORD
	v_fma_f16 v94, v5, v4, -v84
	v_mul_f16_sdwa v4, v5, v4 dst_sel:DWORD dst_unused:UNUSED_PAD src0_sel:WORD_1 src1_sel:DWORD
	v_fma_f16 v98, v5, v143, v4
	;; [unrolled: 6-line block ×4, first 2 shown]
	v_lshrrev_b32_e32 v4, 16, v87
	v_mul_f16_sdwa v5, v28, v4 dst_sel:DWORD dst_unused:UNUSED_PAD src0_sel:WORD_1 src1_sel:DWORD
	v_fma_f16 v85, v28, v87, v5
	v_mul_f16_sdwa v5, v28, v87 dst_sel:DWORD dst_unused:UNUSED_PAD src0_sel:WORD_1 src1_sel:DWORD
	v_lshrrev_b32_e32 v6, 16, v89
	v_fma_f16 v84, v28, v4, -v5
	ds_read2_b32 v[4:5], v129 offset0:92 offset1:217
	v_mul_f16_sdwa v7, v30, v6 dst_sel:DWORD dst_unused:UNUSED_PAD src0_sel:WORD_1 src1_sel:DWORD
	v_fma_f16 v90, v30, v89, v7
	v_mul_f16_sdwa v7, v30, v89 dst_sel:DWORD dst_unused:UNUSED_PAD src0_sel:WORD_1 src1_sel:DWORD
	v_fma_f16 v87, v30, v6, -v7
	ds_read2_b32 v[6:7], v124 offset0:62 offset1:187
	s_waitcnt lgkmcnt(1)
	v_lshrrev_b32_e32 v28, 16, v4
	v_mul_f16_sdwa v30, v29, v4 dst_sel:DWORD dst_unused:UNUSED_PAD src0_sel:WORD_1 src1_sel:DWORD
	v_fma_f16 v89, v29, v28, -v30
	v_mul_f16_sdwa v28, v29, v28 dst_sel:DWORD dst_unused:UNUSED_PAD src0_sel:WORD_1 src1_sel:DWORD
	v_fma_f16 v93, v29, v4, v28
	s_waitcnt lgkmcnt(0)
	v_lshrrev_b32_e32 v4, 16, v6
	v_mul_f16_sdwa v28, v31, v6 dst_sel:DWORD dst_unused:UNUSED_PAD src0_sel:WORD_1 src1_sel:DWORD
	v_fma_f16 v92, v31, v4, -v28
	v_mul_f16_sdwa v4, v31, v4 dst_sel:DWORD dst_unused:UNUSED_PAD src0_sel:WORD_1 src1_sel:DWORD
	v_fma_f16 v96, v31, v6, v4
	v_lshrrev_b32_e32 v4, 16, v5
	v_mul_f16_sdwa v6, v25, v4 dst_sel:DWORD dst_unused:UNUSED_PAD src0_sel:WORD_1 src1_sel:DWORD
	v_fma_f16 v28, v25, v5, v6
	v_mul_f16_sdwa v5, v25, v5 dst_sel:DWORD dst_unused:UNUSED_PAD src0_sel:WORD_1 src1_sel:DWORD
	v_fma_f16 v25, v25, v4, -v5
	ds_read2_b32 v[4:5], v113 offset0:104 offset1:229
	v_lshrrev_b32_e32 v6, 16, v7
	v_mul_f16_sdwa v29, v27, v6 dst_sel:DWORD dst_unused:UNUSED_PAD src0_sel:WORD_1 src1_sel:DWORD
	v_fma_f16 v30, v27, v7, v29
	v_mul_f16_sdwa v7, v27, v7 dst_sel:DWORD dst_unused:UNUSED_PAD src0_sel:WORD_1 src1_sel:DWORD
	v_fma_f16 v27, v27, v6, -v7
	s_waitcnt lgkmcnt(0)
	v_lshrrev_b32_e32 v6, 16, v4
	v_mul_f16_sdwa v7, v24, v4 dst_sel:DWORD dst_unused:UNUSED_PAD src0_sel:WORD_1 src1_sel:DWORD
	v_fma_f16 v29, v24, v6, -v7
	v_mul_f16_sdwa v6, v24, v6 dst_sel:DWORD dst_unused:UNUSED_PAD src0_sel:WORD_1 src1_sel:DWORD
	v_fma_f16 v86, v24, v4, v6
	v_lshrrev_b32_e32 v4, 16, v164
	v_mul_f16_sdwa v6, v26, v164 dst_sel:DWORD dst_unused:UNUSED_PAD src0_sel:WORD_1 src1_sel:DWORD
	v_fma_f16 v31, v26, v4, -v6
	v_mul_f16_sdwa v4, v26, v4 dst_sel:DWORD dst_unused:UNUSED_PAD src0_sel:WORD_1 src1_sel:DWORD
	v_fma_f16 v88, v26, v164, v4
	v_lshrrev_b32_e32 v4, 16, v5
	v_mul_f16_sdwa v6, v20, v4 dst_sel:DWORD dst_unused:UNUSED_PAD src0_sel:WORD_1 src1_sel:DWORD
	v_fma_f16 v7, v20, v5, v6
	v_mul_f16_sdwa v5, v20, v5 dst_sel:DWORD dst_unused:UNUSED_PAD src0_sel:WORD_1 src1_sel:DWORD
	v_fma_f16 v6, v20, v4, -v5
	v_lshrrev_b32_e32 v4, 16, v165
	ds_read_b32 v143, v76 offset:12000
	v_mul_f16_sdwa v5, v22, v4 dst_sel:DWORD dst_unused:UNUSED_PAD src0_sel:WORD_1 src1_sel:DWORD
	v_fma_f16 v24, v22, v165, v5
	v_mul_f16_sdwa v5, v22, v165 dst_sel:DWORD dst_unused:UNUSED_PAD src0_sel:WORD_1 src1_sel:DWORD
	v_fma_f16 v20, v22, v4, -v5
	ds_read2_b32 v[4:5], v134 offset0:86 offset1:211
	s_waitcnt lgkmcnt(1)
	v_lshrrev_b32_e32 v22, 16, v143
	v_mul_f16_sdwa v26, v23, v22 dst_sel:DWORD dst_unused:UNUSED_PAD src0_sel:WORD_1 src1_sel:DWORD
	v_fma_f16 v26, v23, v143, v26
	v_mul_f16_sdwa v143, v23, v143 dst_sel:DWORD dst_unused:UNUSED_PAD src0_sel:WORD_1 src1_sel:DWORD
	v_fma_f16 v22, v23, v22, -v143
	s_waitcnt lgkmcnt(0)
	v_lshrrev_b32_e32 v143, 16, v4
	v_mul_f16_sdwa v23, v21, v4 dst_sel:DWORD dst_unused:UNUSED_PAD src0_sel:WORD_1 src1_sel:DWORD
	v_fma_f16 v23, v21, v143, -v23
	v_mul_f16_sdwa v143, v21, v143 dst_sel:DWORD dst_unused:UNUSED_PAD src0_sel:WORD_1 src1_sel:DWORD
	v_fma_f16 v21, v21, v4, v143
	v_lshrrev_b32_e32 v4, 16, v142
	v_mul_f16_sdwa v143, v1, v4 dst_sel:DWORD dst_unused:UNUSED_PAD src0_sel:WORD_1 src1_sel:DWORD
	v_fma_f16 v143, v1, v142, v143
	v_mul_f16_sdwa v142, v1, v142 dst_sel:DWORD dst_unused:UNUSED_PAD src0_sel:WORD_1 src1_sel:DWORD
	v_fma_f16 v142, v1, v4, -v142
	v_lshrrev_b32_e32 v1, 16, v5
	v_mul_f16_sdwa v4, v2, v1 dst_sel:DWORD dst_unused:UNUSED_PAD src0_sel:WORD_1 src1_sel:DWORD
	v_fma_f16 v144, v2, v5, v4
	v_mul_f16_sdwa v4, v2, v5 dst_sel:DWORD dst_unused:UNUSED_PAD src0_sel:WORD_1 src1_sel:DWORD
	v_fma_f16 v163, v2, v1, -v4
	ds_read2_b32 v[4:5], v136 offset0:116 offset1:241
	v_lshrrev_b32_e32 v1, 16, v162
	v_mul_f16_sdwa v2, v3, v1 dst_sel:DWORD dst_unused:UNUSED_PAD src0_sel:WORD_1 src1_sel:DWORD
	v_fma_f16 v164, v3, v162, v2
	v_mul_f16_sdwa v2, v3, v162 dst_sel:DWORD dst_unused:UNUSED_PAD src0_sel:WORD_1 src1_sel:DWORD
	v_fma_f16 v162, v3, v1, -v2
	s_waitcnt lgkmcnt(0)
	v_lshrrev_b32_e32 v1, 16, v5
	v_mul_f16_sdwa v2, v0, v5 dst_sel:DWORD dst_unused:UNUSED_PAD src0_sel:WORD_1 src1_sel:DWORD
	v_fma_f16 v165, v0, v1, -v2
	v_mul_f16_sdwa v1, v0, v1 dst_sel:DWORD dst_unused:UNUSED_PAD src0_sel:WORD_1 src1_sel:DWORD
	v_fma_f16 v5, v0, v5, v1
	ds_read2_b32 v[0:1], v76 offset1:125
	v_sub_f16_e32 v2, v5, v143
	v_sub_f16_e32 v3, v164, v144
	v_add_f16_e32 v166, v2, v3
	v_sub_f16_e32 v2, v165, v142
	v_sub_f16_e32 v3, v162, v163
	s_waitcnt lgkmcnt(0)
	v_lshrrev_b32_e32 v168, 16, v0
	v_add_f16_e32 v167, v2, v3
	v_add_f16_e32 v2, v0, v5
	;; [unrolled: 1-line block ×9, first 2 shown]
	v_pack_b32_f16 v169, v2, v3
	v_add_f16_e32 v2, v143, v144
	v_sub_f16_e32 v174, v5, v164
	v_sub_f16_e32 v175, v143, v144
	;; [unrolled: 1-line block ×3, first 2 shown]
	v_add_f16_e32 v5, v5, v164
	v_fma_f16 v170, v2, -0.5, v0
	v_sub_f16_e32 v172, v142, v163
	v_fma_f16 v0, v5, -0.5, v0
	v_sub_f16_e32 v171, v165, v162
	v_sub_f16_e32 v144, v144, v164
	v_fma_f16 v5, v172, s2, v0
	v_fma_f16 v0, v172, s8, v0
	v_add_f16_e32 v143, v143, v144
	v_fma_f16 v5, v171, s7, v5
	v_fma_f16 v0, v171, s3, v0
	;; [unrolled: 1-line block ×4, first 2 shown]
	v_add_f16_e32 v143, v165, v162
	v_add_f16_e32 v3, v142, v163
	v_fma_f16 v143, v143, -0.5, v168
	v_sub_f16_e32 v142, v142, v165
	v_sub_f16_e32 v144, v163, v162
	v_fma_f16 v173, v3, -0.5, v168
	v_add_f16_e32 v142, v142, v144
	v_fma_f16 v144, v175, s8, v143
	v_fma_f16 v143, v175, s2, v143
	;; [unrolled: 1-line block ×12, first 2 shown]
	v_pack_b32_f16 v5, v5, v144
	v_pack_b32_f16 v0, v0, v142
	;; [unrolled: 1-line block ×3, first 2 shown]
	ds_read2_b32 v[2:3], v122 offset0:122 offset1:247
	s_waitcnt lgkmcnt(0)
	s_barrier
	ds_write2_b32 v81, v5, v0 offset0:10 offset1:15
	v_fma_f16 v0, v171, s2, v170
	v_fma_f16 v5, v174, s8, v173
	;; [unrolled: 1-line block ×6, first 2 shown]
	v_pack_b32_f16 v0, v0, v5
	v_sub_f16_e32 v142, v95, v98
	v_sub_f16_e32 v143, v141, v140
	ds_write2_b32 v81, v169, v176 offset1:5
	ds_write_b32 v81, v0 offset:80
	v_add_f16_e32 v0, v98, v140
	v_add_f16_e32 v5, v95, v141
	v_lshrrev_b32_e32 v81, 16, v1
	v_add_f16_e32 v142, v142, v143
	v_sub_f16_e32 v143, v91, v94
	v_sub_f16_e32 v144, v99, v97
	v_fma_f16 v0, v0, -0.5, v1
	v_fma_f16 v5, v5, -0.5, v1
	v_add_f16_e32 v1, v1, v95
	v_add_f16_e32 v143, v143, v144
	;; [unrolled: 1-line block ×10, first 2 shown]
	v_pack_b32_f16 v1, v1, v144
	v_sub_f16_e32 v144, v91, v99
	v_fma_f16 v164, v164, -0.5, v81
	v_sub_f16_e32 v165, v95, v141
	v_fma_f16 v162, v144, s8, v0
	v_sub_f16_e32 v163, v94, v97
	v_fma_f16 v166, v165, s2, v164
	;; [unrolled: 2-line block ×3, first 2 shown]
	v_fma_f16 v166, v167, s3, v166
	v_fma_f16 v162, v142, s6, v162
	v_fma_f16 v166, v143, s6, v166
	v_pack_b32_f16 v162, v162, v166
	ds_write2_b32 v145, v1, v162 offset1:5
	v_sub_f16_e32 v1, v98, v95
	v_sub_f16_e32 v95, v140, v141
	v_add_f16_e32 v1, v1, v95
	v_fma_f16 v95, v163, s2, v5
	v_fma_f16 v5, v163, s8, v5
	;; [unrolled: 1-line block ×6, first 2 shown]
	v_add_f16_e32 v5, v91, v99
	v_fma_f16 v5, v5, -0.5, v81
	v_sub_f16_e32 v81, v94, v91
	v_sub_f16_e32 v91, v97, v99
	v_add_f16_e32 v81, v81, v91
	v_fma_f16 v91, v167, s8, v5
	v_fma_f16 v5, v167, s2, v5
	;; [unrolled: 1-line block ×6, first 2 shown]
	v_pack_b32_f16 v81, v95, v91
	v_pack_b32_f16 v1, v1, v5
	ds_write2_b32 v145, v81, v1 offset0:10 offset1:15
	v_fma_f16 v0, v144, s2, v0
	v_fma_f16 v1, v165, s8, v164
	;; [unrolled: 1-line block ×6, first 2 shown]
	v_pack_b32_f16 v0, v0, v1
	ds_write_b32 v145, v0 offset:80
	v_sub_f16_e32 v0, v85, v93
	v_sub_f16_e32 v1, v96, v90
	v_add_f16_e32 v0, v0, v1
	v_sub_f16_e32 v1, v84, v89
	v_sub_f16_e32 v5, v92, v87
	v_lshrrev_b32_e32 v81, 16, v2
	v_add_f16_e32 v1, v1, v5
	v_add_f16_e32 v5, v2, v85
	;; [unrolled: 1-line block ×9, first 2 shown]
	v_pack_b32_f16 v5, v5, v91
	v_add_f16_e32 v91, v93, v90
	v_add_f16_e32 v98, v89, v87
	v_fma_f16 v91, v91, -0.5, v2
	v_sub_f16_e32 v94, v84, v92
	v_fma_f16 v98, v98, -0.5, v81
	v_sub_f16_e32 v99, v85, v96
	v_fma_f16 v95, v94, s8, v91
	v_sub_f16_e32 v97, v89, v87
	v_fma_f16 v140, v99, s2, v98
	;; [unrolled: 2-line block ×3, first 2 shown]
	v_fma_f16 v140, v141, s3, v140
	v_fma_f16 v95, v0, s6, v95
	;; [unrolled: 1-line block ×3, first 2 shown]
	v_pack_b32_f16 v95, v95, v140
	ds_write2_b32 v146, v5, v95 offset1:5
	v_sub_f16_e32 v5, v93, v85
	v_add_f16_e32 v85, v85, v96
	v_fma_f16 v2, v85, -0.5, v2
	v_sub_f16_e32 v90, v90, v96
	v_fma_f16 v85, v97, s2, v2
	v_fma_f16 v2, v97, s8, v2
	v_add_f16_e32 v5, v5, v90
	v_fma_f16 v85, v94, s7, v85
	v_fma_f16 v2, v94, s3, v2
	;; [unrolled: 1-line block ×4, first 2 shown]
	v_add_f16_e32 v5, v84, v92
	v_fma_f16 v5, v5, -0.5, v81
	v_sub_f16_e32 v81, v89, v84
	v_sub_f16_e32 v84, v87, v92
	v_add_f16_e32 v81, v81, v84
	v_fma_f16 v84, v141, s8, v5
	v_fma_f16 v5, v141, s2, v5
	;; [unrolled: 1-line block ×6, first 2 shown]
	v_pack_b32_f16 v81, v85, v84
	v_pack_b32_f16 v2, v2, v5
	ds_write2_b32 v146, v81, v2 offset0:10 offset1:15
	v_fma_f16 v2, v94, s2, v91
	v_fma_f16 v2, v97, s3, v2
	;; [unrolled: 1-line block ×6, first 2 shown]
	v_pack_b32_f16 v0, v0, v1
	v_sub_f16_e32 v5, v86, v28
	v_sub_f16_e32 v81, v30, v88
	ds_write_b32 v146, v0 offset:80
	v_add_f16_e32 v0, v28, v88
	v_add_f16_e32 v1, v86, v30
	v_lshrrev_b32_e32 v2, 16, v3
	v_add_f16_e32 v5, v5, v81
	v_sub_f16_e32 v81, v29, v25
	v_sub_f16_e32 v84, v27, v31
	v_fma_f16 v0, v0, -0.5, v3
	v_fma_f16 v1, v1, -0.5, v3
	v_add_f16_e32 v3, v3, v86
	v_add_f16_e32 v81, v81, v84
	;; [unrolled: 1-line block ×10, first 2 shown]
	v_pack_b32_f16 v3, v3, v84
	v_sub_f16_e32 v84, v29, v27
	v_fma_f16 v89, v89, -0.5, v2
	v_sub_f16_e32 v90, v86, v30
	v_fma_f16 v85, v84, s8, v0
	v_sub_f16_e32 v87, v25, v31
	v_fma_f16 v91, v90, s2, v89
	;; [unrolled: 2-line block ×3, first 2 shown]
	v_fma_f16 v91, v92, s3, v91
	v_fma_f16 v85, v5, s6, v85
	;; [unrolled: 1-line block ×3, first 2 shown]
	v_pack_b32_f16 v85, v85, v91
	ds_write2_b32 v147, v3, v85 offset1:5
	v_sub_f16_e32 v3, v28, v86
	v_sub_f16_e32 v28, v88, v30
	v_add_f16_e32 v3, v3, v28
	v_fma_f16 v28, v87, s2, v1
	v_fma_f16 v1, v87, s8, v1
	;; [unrolled: 1-line block ×6, first 2 shown]
	v_add_f16_e32 v3, v29, v27
	v_fma_f16 v2, v3, -0.5, v2
	v_sub_f16_e32 v3, v25, v29
	v_sub_f16_e32 v25, v31, v27
	v_add_f16_e32 v3, v3, v25
	v_fma_f16 v25, v92, s8, v2
	v_fma_f16 v2, v92, s2, v2
	v_fma_f16 v25, v90, s3, v25
	v_fma_f16 v2, v90, s7, v2
	v_fma_f16 v25, v3, s6, v25
	v_fma_f16 v2, v3, s6, v2
	v_pack_b32_f16 v3, v28, v25
	v_pack_b32_f16 v1, v1, v2
	ds_write2_b32 v147, v3, v1 offset0:10 offset1:15
	v_fma_f16 v0, v84, s2, v0
	v_fma_f16 v1, v90, s8, v89
	;; [unrolled: 1-line block ×6, first 2 shown]
	v_pack_b32_f16 v0, v0, v1
	ds_write_b32 v147, v0 offset:80
	v_add_f16_e32 v0, v21, v24
	v_add_f16_e32 v1, v7, v26
	v_fma_f16 v0, v0, -0.5, v4
	v_fma_f16 v1, v1, -0.5, v4
	v_lshrrev_b32_e32 v2, 16, v4
	v_add_f16_e32 v3, v4, v7
	v_sub_f16_e32 v4, v7, v21
	v_sub_f16_e32 v5, v26, v24
	v_add_f16_e32 v4, v4, v5
	v_sub_f16_e32 v5, v6, v23
	v_sub_f16_e32 v25, v22, v20
	v_add_f16_e32 v5, v5, v25
	v_add_f16_e32 v25, v2, v6
	;; [unrolled: 1-line block ×9, first 2 shown]
	v_pack_b32_f16 v3, v3, v25
	v_sub_f16_e32 v25, v6, v22
	v_fma_f16 v29, v29, -0.5, v2
	v_sub_f16_e32 v30, v7, v26
	v_fma_f16 v27, v25, s8, v0
	v_sub_f16_e32 v28, v23, v20
	v_fma_f16 v31, v30, s2, v29
	;; [unrolled: 2-line block ×3, first 2 shown]
	v_fma_f16 v31, v81, s3, v31
	v_fma_f16 v27, v4, s6, v27
	;; [unrolled: 1-line block ×3, first 2 shown]
	v_pack_b32_f16 v27, v27, v31
	ds_write2_b32 v148, v3, v27 offset1:5
	v_sub_f16_e32 v3, v21, v7
	v_sub_f16_e32 v7, v24, v26
	v_add_f16_e32 v3, v3, v7
	v_fma_f16 v7, v28, s2, v1
	v_fma_f16 v1, v28, s8, v1
	;; [unrolled: 1-line block ×6, first 2 shown]
	v_add_f16_e32 v3, v6, v22
	v_fma_f16 v2, v3, -0.5, v2
	v_sub_f16_e32 v3, v23, v6
	v_sub_f16_e32 v6, v20, v22
	v_add_f16_e32 v3, v3, v6
	v_fma_f16 v6, v81, s8, v2
	v_fma_f16 v2, v81, s2, v2
	;; [unrolled: 1-line block ×6, first 2 shown]
	v_pack_b32_f16 v3, v7, v6
	v_pack_b32_f16 v1, v1, v2
	ds_write2_b32 v148, v3, v1 offset0:10 offset1:15
	v_fma_f16 v0, v25, s2, v0
	v_fma_f16 v1, v30, s8, v29
	v_fma_f16 v0, v28, s3, v0
	v_fma_f16 v1, v81, s7, v1
	v_fma_f16 v0, v4, s6, v0
	v_fma_f16 v1, v5, s6, v1
	v_pack_b32_f16 v0, v0, v1
	ds_write_b32 v148, v0 offset:80
	s_waitcnt lgkmcnt(0)
	s_barrier
	ds_read2_b32 v[0:1], v131 offset0:110 offset1:235
	ds_read2_b32 v[2:3], v135 offset0:98 offset1:223
	;; [unrolled: 1-line block ×4, first 2 shown]
	s_waitcnt lgkmcnt(3)
	v_lshrrev_b32_e32 v4, 16, v0
	v_mul_f16_sdwa v5, v40, v0 dst_sel:DWORD dst_unused:UNUSED_PAD src0_sel:WORD_1 src1_sel:DWORD
	v_fma_f16 v81, v40, v4, -v5
	v_mul_f16_sdwa v4, v40, v4 dst_sel:DWORD dst_unused:UNUSED_PAD src0_sel:WORD_1 src1_sel:DWORD
	v_fma_f16 v85, v40, v0, v4
	ds_read2_b32 v[4:5], v127 offset0:80 offset1:205
	s_waitcnt lgkmcnt(3)
	v_lshrrev_b32_e32 v0, 16, v3
	v_mul_f16_sdwa v6, v41, v3 dst_sel:DWORD dst_unused:UNUSED_PAD src0_sel:WORD_1 src1_sel:DWORD
	v_fma_f16 v84, v41, v0, -v6
	v_mul_f16_sdwa v0, v41, v0 dst_sel:DWORD dst_unused:UNUSED_PAD src0_sel:WORD_1 src1_sel:DWORD
	v_fma_f16 v87, v41, v3, v0
	s_waitcnt lgkmcnt(0)
	v_lshrrev_b32_e32 v0, 16, v4
	v_mul_f16_sdwa v3, v42, v4 dst_sel:DWORD dst_unused:UNUSED_PAD src0_sel:WORD_1 src1_sel:DWORD
	v_fma_f16 v86, v42, v0, -v3
	v_mul_f16_sdwa v0, v42, v0 dst_sel:DWORD dst_unused:UNUSED_PAD src0_sel:WORD_1 src1_sel:DWORD
	v_fma_f16 v89, v42, v4, v0
	v_lshrrev_b32_e32 v0, 16, v93
	v_mul_f16_sdwa v3, v43, v93 dst_sel:DWORD dst_unused:UNUSED_PAD src0_sel:WORD_1 src1_sel:DWORD
	v_fma_f16 v88, v43, v0, -v3
	v_mul_f16_sdwa v0, v43, v0 dst_sel:DWORD dst_unused:UNUSED_PAD src0_sel:WORD_1 src1_sel:DWORD
	v_fma_f16 v90, v43, v93, v0
	v_lshrrev_b32_e32 v0, 16, v1
	v_mul_f16_sdwa v3, v48, v0 dst_sel:DWORD dst_unused:UNUSED_PAD src0_sel:WORD_1 src1_sel:DWORD
	v_fma_f16 v31, v48, v1, v3
	v_mul_f16_sdwa v1, v48, v1 dst_sel:DWORD dst_unused:UNUSED_PAD src0_sel:WORD_1 src1_sel:DWORD
	v_lshrrev_b32_e32 v3, 16, v5
	v_fma_f16 v29, v48, v0, -v1
	ds_read2_b32 v[0:1], v129 offset0:92 offset1:217
	v_mul_f16_sdwa v4, v50, v3 dst_sel:DWORD dst_unused:UNUSED_PAD src0_sel:WORD_1 src1_sel:DWORD
	v_fma_f16 v48, v50, v5, v4
	v_mul_f16_sdwa v4, v50, v5 dst_sel:DWORD dst_unused:UNUSED_PAD src0_sel:WORD_1 src1_sel:DWORD
	v_fma_f16 v41, v50, v3, -v4
	ds_read2_b32 v[4:5], v124 offset0:62 offset1:187
	s_waitcnt lgkmcnt(1)
	v_lshrrev_b32_e32 v3, 16, v0
	v_mul_f16_sdwa v6, v49, v0 dst_sel:DWORD dst_unused:UNUSED_PAD src0_sel:WORD_1 src1_sel:DWORD
	v_fma_f16 v43, v49, v3, -v6
	v_mul_f16_sdwa v3, v49, v3 dst_sel:DWORD dst_unused:UNUSED_PAD src0_sel:WORD_1 src1_sel:DWORD
	v_fma_f16 v50, v49, v0, v3
	s_waitcnt lgkmcnt(0)
	v_lshrrev_b32_e32 v0, 16, v4
	v_mul_f16_sdwa v3, v51, v4 dst_sel:DWORD dst_unused:UNUSED_PAD src0_sel:WORD_1 src1_sel:DWORD
	v_fma_f16 v49, v51, v0, -v3
	v_mul_f16_sdwa v0, v51, v0 dst_sel:DWORD dst_unused:UNUSED_PAD src0_sel:WORD_1 src1_sel:DWORD
	v_fma_f16 v51, v51, v4, v0
	v_lshrrev_b32_e32 v0, 16, v1
	v_mul_f16_sdwa v3, v45, v0 dst_sel:DWORD dst_unused:UNUSED_PAD src0_sel:WORD_1 src1_sel:DWORD
	v_fma_f16 v24, v45, v1, v3
	v_mul_f16_sdwa v1, v45, v1 dst_sel:DWORD dst_unused:UNUSED_PAD src0_sel:WORD_1 src1_sel:DWORD
	v_fma_f16 v22, v45, v0, -v1
	ds_read2_b32 v[0:1], v113 offset0:104 offset1:229
	v_lshrrev_b32_e32 v3, 16, v5
	v_mul_f16_sdwa v4, v47, v3 dst_sel:DWORD dst_unused:UNUSED_PAD src0_sel:WORD_1 src1_sel:DWORD
	v_fma_f16 v28, v47, v5, v4
	v_mul_f16_sdwa v4, v47, v5 dst_sel:DWORD dst_unused:UNUSED_PAD src0_sel:WORD_1 src1_sel:DWORD
	v_fma_f16 v26, v47, v3, -v4
	s_waitcnt lgkmcnt(0)
	v_lshrrev_b32_e32 v3, 16, v0
	v_mul_f16_sdwa v4, v44, v0 dst_sel:DWORD dst_unused:UNUSED_PAD src0_sel:WORD_1 src1_sel:DWORD
	v_fma_f16 v27, v44, v3, -v4
	v_mul_f16_sdwa v3, v44, v3 dst_sel:DWORD dst_unused:UNUSED_PAD src0_sel:WORD_1 src1_sel:DWORD
	v_fma_f16 v40, v44, v0, v3
	v_lshrrev_b32_e32 v0, 16, v20
	v_mul_f16_sdwa v3, v46, v20 dst_sel:DWORD dst_unused:UNUSED_PAD src0_sel:WORD_1 src1_sel:DWORD
	v_fma_f16 v30, v46, v0, -v3
	v_mul_f16_sdwa v0, v46, v0 dst_sel:DWORD dst_unused:UNUSED_PAD src0_sel:WORD_1 src1_sel:DWORD
	v_fma_f16 v42, v46, v20, v0
	v_lshrrev_b32_e32 v0, 16, v1
	v_mul_f16_sdwa v3, v36, v0 dst_sel:DWORD dst_unused:UNUSED_PAD src0_sel:WORD_1 src1_sel:DWORD
	v_fma_f16 v5, v36, v1, v3
	v_mul_f16_sdwa v1, v36, v1 dst_sel:DWORD dst_unused:UNUSED_PAD src0_sel:WORD_1 src1_sel:DWORD
	v_fma_f16 v4, v36, v0, -v1
	v_lshrrev_b32_e32 v0, 16, v21
	ds_read_b32 v3, v76 offset:12000
	v_mul_f16_sdwa v1, v38, v0 dst_sel:DWORD dst_unused:UNUSED_PAD src0_sel:WORD_1 src1_sel:DWORD
	v_fma_f16 v7, v38, v21, v1
	v_mul_f16_sdwa v1, v38, v21 dst_sel:DWORD dst_unused:UNUSED_PAD src0_sel:WORD_1 src1_sel:DWORD
	v_fma_f16 v6, v38, v0, -v1
	ds_read2_b32 v[0:1], v134 offset0:86 offset1:211
	s_waitcnt lgkmcnt(1)
	v_lshrrev_b32_e32 v20, 16, v3
	v_mul_f16_sdwa v21, v39, v20 dst_sel:DWORD dst_unused:UNUSED_PAD src0_sel:WORD_1 src1_sel:DWORD
	v_fma_f16 v23, v39, v3, v21
	v_mul_f16_sdwa v3, v39, v3 dst_sel:DWORD dst_unused:UNUSED_PAD src0_sel:WORD_1 src1_sel:DWORD
	v_fma_f16 v20, v39, v20, -v3
	s_waitcnt lgkmcnt(0)
	v_lshrrev_b32_e32 v3, 16, v0
	v_mul_f16_sdwa v21, v37, v0 dst_sel:DWORD dst_unused:UNUSED_PAD src0_sel:WORD_1 src1_sel:DWORD
	v_fma_f16 v21, v37, v3, -v21
	v_mul_f16_sdwa v3, v37, v3 dst_sel:DWORD dst_unused:UNUSED_PAD src0_sel:WORD_1 src1_sel:DWORD
	v_fma_f16 v25, v37, v0, v3
	v_lshrrev_b32_e32 v0, 16, v2
	v_mul_f16_sdwa v3, v9, v0 dst_sel:DWORD dst_unused:UNUSED_PAD src0_sel:WORD_1 src1_sel:DWORD
	v_fma_f16 v36, v9, v2, v3
	v_mul_f16_sdwa v2, v9, v2 dst_sel:DWORD dst_unused:UNUSED_PAD src0_sel:WORD_1 src1_sel:DWORD
	v_fma_f16 v37, v9, v0, -v2
	v_lshrrev_b32_e32 v0, 16, v1
	v_mul_f16_sdwa v2, v10, v0 dst_sel:DWORD dst_unused:UNUSED_PAD src0_sel:WORD_1 src1_sel:DWORD
	v_fma_f16 v38, v10, v1, v2
	v_mul_f16_sdwa v1, v10, v1 dst_sel:DWORD dst_unused:UNUSED_PAD src0_sel:WORD_1 src1_sel:DWORD
	v_fma_f16 v10, v10, v0, -v1
	ds_read2_b32 v[0:1], v136 offset0:116 offset1:241
	v_lshrrev_b32_e32 v2, 16, v92
	v_mul_f16_sdwa v3, v11, v2 dst_sel:DWORD dst_unused:UNUSED_PAD src0_sel:WORD_1 src1_sel:DWORD
	v_fma_f16 v39, v11, v92, v3
	v_mul_f16_sdwa v3, v11, v92 dst_sel:DWORD dst_unused:UNUSED_PAD src0_sel:WORD_1 src1_sel:DWORD
	v_fma_f16 v11, v11, v2, -v3
	s_waitcnt lgkmcnt(0)
	v_lshrrev_b32_e32 v2, 16, v1
	v_mul_f16_sdwa v3, v8, v1 dst_sel:DWORD dst_unused:UNUSED_PAD src0_sel:WORD_1 src1_sel:DWORD
	v_fma_f16 v44, v8, v2, -v3
	v_mul_f16_sdwa v2, v8, v2 dst_sel:DWORD dst_unused:UNUSED_PAD src0_sel:WORD_1 src1_sel:DWORD
	v_fma_f16 v1, v8, v1, v2
	ds_read2_b32 v[2:3], v76 offset1:125
	v_sub_f16_e32 v8, v1, v36
	v_sub_f16_e32 v9, v39, v38
	v_add_f16_e32 v45, v8, v9
	v_sub_f16_e32 v8, v44, v37
	v_sub_f16_e32 v9, v11, v10
	s_waitcnt lgkmcnt(0)
	v_lshrrev_b32_e32 v47, 16, v2
	v_add_f16_e32 v46, v8, v9
	v_add_f16_e32 v8, v2, v1
	;; [unrolled: 1-line block ×9, first 2 shown]
	v_pack_b32_f16 v91, v8, v9
	v_add_f16_e32 v8, v36, v38
	v_sub_f16_e32 v96, v1, v39
	v_sub_f16_e32 v97, v36, v38
	;; [unrolled: 1-line block ×3, first 2 shown]
	v_add_f16_e32 v1, v1, v39
	v_sub_f16_e32 v94, v37, v10
	v_fma_f16 v1, v1, -0.5, v2
	v_fma_f16 v92, v8, -0.5, v2
	v_sub_f16_e32 v93, v44, v11
	v_sub_f16_e32 v38, v38, v39
	v_fma_f16 v2, v94, s2, v1
	v_fma_f16 v1, v94, s8, v1
	v_add_f16_e32 v36, v36, v38
	v_fma_f16 v2, v93, s7, v2
	v_fma_f16 v1, v93, s3, v1
	;; [unrolled: 1-line block ×4, first 2 shown]
	v_add_f16_e32 v36, v44, v11
	v_add_f16_e32 v9, v37, v10
	v_fma_f16 v36, v36, -0.5, v47
	v_fma_f16 v95, v9, -0.5, v47
	v_sub_f16_e32 v37, v37, v44
	v_sub_f16_e32 v10, v10, v11
	v_fma_f16 v11, v97, s8, v36
	v_fma_f16 v36, v97, s2, v36
	;; [unrolled: 1-line block ×4, first 2 shown]
	v_add_f16_e32 v10, v37, v10
	v_fma_f16 v11, v96, s3, v11
	v_fma_f16 v36, v96, s7, v36
	;; [unrolled: 1-line block ×8, first 2 shown]
	v_pack_b32_f16 v2, v2, v11
	v_pack_b32_f16 v1, v1, v10
	;; [unrolled: 1-line block ×3, first 2 shown]
	ds_read2_b32 v[8:9], v122 offset0:122 offset1:247
	s_waitcnt lgkmcnt(0)
	s_barrier
	ds_write2_b32 v149, v2, v1 offset0:50 offset1:75
	v_fma_f16 v1, v93, s2, v92
	v_fma_f16 v2, v96, s8, v95
	;; [unrolled: 1-line block ×6, first 2 shown]
	v_pack_b32_f16 v1, v1, v2
	v_sub_f16_e32 v11, v85, v87
	v_sub_f16_e32 v36, v90, v89
	ds_write_b32 v149, v1 offset:400
	v_add_f16_e32 v1, v87, v89
	v_add_f16_e32 v2, v85, v90
	v_lshrrev_b32_e32 v10, 16, v3
	v_add_f16_e32 v11, v11, v36
	v_sub_f16_e32 v36, v81, v84
	v_sub_f16_e32 v37, v88, v86
	v_fma_f16 v1, v1, -0.5, v3
	v_fma_f16 v2, v2, -0.5, v3
	v_add_f16_e32 v3, v3, v85
	v_add_f16_e32 v36, v36, v37
	;; [unrolled: 1-line block ×10, first 2 shown]
	v_pack_b32_f16 v3, v3, v37
	v_sub_f16_e32 v37, v81, v88
	v_fma_f16 v44, v44, -0.5, v10
	v_sub_f16_e32 v45, v85, v90
	v_fma_f16 v38, v37, s8, v1
	v_sub_f16_e32 v39, v84, v86
	v_fma_f16 v46, v45, s2, v44
	;; [unrolled: 2-line block ×3, first 2 shown]
	v_fma_f16 v46, v47, s3, v46
	v_fma_f16 v38, v11, s6, v38
	;; [unrolled: 1-line block ×3, first 2 shown]
	v_pack_b32_f16 v38, v38, v46
	ds_write2_b32 v149, v91, v98 offset1:25
	ds_write2_b32 v150, v3, v38 offset1:25
	v_sub_f16_e32 v3, v87, v85
	v_sub_f16_e32 v38, v89, v90
	v_add_f16_e32 v3, v3, v38
	v_fma_f16 v38, v39, s2, v2
	v_fma_f16 v2, v39, s8, v2
	;; [unrolled: 1-line block ×6, first 2 shown]
	v_add_f16_e32 v3, v81, v88
	v_fma_f16 v3, v3, -0.5, v10
	v_sub_f16_e32 v10, v84, v81
	v_sub_f16_e32 v46, v86, v88
	v_add_f16_e32 v10, v10, v46
	v_fma_f16 v46, v47, s8, v3
	v_fma_f16 v3, v47, s2, v3
	;; [unrolled: 1-line block ×6, first 2 shown]
	v_pack_b32_f16 v10, v38, v46
	v_pack_b32_f16 v2, v2, v3
	ds_write2_b32 v150, v10, v2 offset0:50 offset1:75
	v_fma_f16 v1, v37, s2, v1
	v_fma_f16 v2, v45, s8, v44
	;; [unrolled: 1-line block ×6, first 2 shown]
	v_pack_b32_f16 v1, v1, v2
	ds_write_b32 v150, v1 offset:400
	v_sub_f16_e32 v1, v31, v50
	v_sub_f16_e32 v2, v51, v48
	v_add_f16_e32 v1, v1, v2
	v_sub_f16_e32 v2, v29, v43
	v_sub_f16_e32 v3, v49, v41
	v_lshrrev_b32_e32 v10, 16, v8
	v_add_f16_e32 v2, v2, v3
	v_add_f16_e32 v3, v8, v31
	;; [unrolled: 1-line block ×9, first 2 shown]
	v_pack_b32_f16 v3, v3, v11
	v_add_f16_e32 v11, v50, v48
	v_add_f16_e32 v39, v43, v41
	v_fma_f16 v11, v11, -0.5, v8
	v_sub_f16_e32 v36, v29, v49
	v_fma_f16 v39, v39, -0.5, v10
	v_sub_f16_e32 v44, v31, v51
	v_fma_f16 v37, v36, s8, v11
	v_sub_f16_e32 v38, v43, v41
	v_fma_f16 v45, v44, s2, v39
	;; [unrolled: 2-line block ×3, first 2 shown]
	v_fma_f16 v45, v46, s3, v45
	v_fma_f16 v37, v1, s6, v37
	;; [unrolled: 1-line block ×3, first 2 shown]
	v_pack_b32_f16 v37, v37, v45
	ds_write2_b32 v151, v3, v37 offset1:25
	v_sub_f16_e32 v3, v50, v31
	v_add_f16_e32 v31, v31, v51
	v_fma_f16 v8, v31, -0.5, v8
	v_sub_f16_e32 v37, v48, v51
	v_fma_f16 v31, v38, s2, v8
	v_fma_f16 v8, v38, s8, v8
	v_add_f16_e32 v3, v3, v37
	v_fma_f16 v31, v36, s7, v31
	v_fma_f16 v8, v36, s3, v8
	;; [unrolled: 1-line block ×4, first 2 shown]
	v_add_f16_e32 v8, v29, v49
	v_fma_f16 v8, v8, -0.5, v10
	v_sub_f16_e32 v10, v43, v29
	v_sub_f16_e32 v29, v41, v49
	v_add_f16_e32 v10, v10, v29
	v_fma_f16 v29, v46, s8, v8
	v_fma_f16 v8, v46, s2, v8
	;; [unrolled: 1-line block ×6, first 2 shown]
	v_pack_b32_f16 v10, v31, v29
	v_pack_b32_f16 v3, v3, v8
	ds_write2_b32 v151, v10, v3 offset0:50 offset1:75
	v_fma_f16 v3, v36, s2, v11
	v_fma_f16 v3, v38, s3, v3
	;; [unrolled: 1-line block ×6, first 2 shown]
	v_pack_b32_f16 v1, v1, v2
	ds_write_b32 v151, v1 offset:400
	v_add_f16_e32 v1, v24, v42
	v_add_f16_e32 v2, v40, v28
	v_fma_f16 v1, v1, -0.5, v9
	v_fma_f16 v2, v2, -0.5, v9
	v_lshrrev_b32_e32 v3, 16, v9
	v_add_f16_e32 v8, v9, v40
	v_sub_f16_e32 v9, v40, v24
	v_sub_f16_e32 v10, v28, v42
	v_add_f16_e32 v9, v9, v10
	v_sub_f16_e32 v10, v27, v22
	v_sub_f16_e32 v11, v26, v30
	v_add_f16_e32 v10, v10, v11
	v_add_f16_e32 v11, v3, v27
	;; [unrolled: 1-line block ×9, first 2 shown]
	v_pack_b32_f16 v8, v8, v11
	v_sub_f16_e32 v11, v27, v26
	v_fma_f16 v36, v36, -0.5, v3
	v_sub_f16_e32 v37, v40, v28
	v_fma_f16 v29, v11, s8, v1
	v_sub_f16_e32 v31, v22, v30
	v_fma_f16 v38, v37, s2, v36
	;; [unrolled: 2-line block ×3, first 2 shown]
	v_fma_f16 v38, v39, s3, v38
	v_fma_f16 v29, v9, s6, v29
	;; [unrolled: 1-line block ×3, first 2 shown]
	v_pack_b32_f16 v29, v29, v38
	ds_write2_b32 v152, v8, v29 offset1:25
	v_sub_f16_e32 v8, v24, v40
	v_sub_f16_e32 v24, v42, v28
	v_add_f16_e32 v8, v8, v24
	v_fma_f16 v24, v31, s2, v2
	v_fma_f16 v2, v31, s8, v2
	v_fma_f16 v24, v11, s7, v24
	v_fma_f16 v2, v11, s3, v2
	v_fma_f16 v24, v8, s6, v24
	v_fma_f16 v2, v8, s6, v2
	v_add_f16_e32 v8, v27, v26
	v_fma_f16 v3, v8, -0.5, v3
	v_sub_f16_e32 v8, v22, v27
	v_sub_f16_e32 v22, v30, v26
	v_add_f16_e32 v8, v8, v22
	v_fma_f16 v22, v39, s8, v3
	v_fma_f16 v3, v39, s2, v3
	;; [unrolled: 1-line block ×6, first 2 shown]
	v_pack_b32_f16 v8, v24, v22
	v_pack_b32_f16 v2, v2, v3
	ds_write2_b32 v152, v8, v2 offset0:50 offset1:75
	v_fma_f16 v1, v11, s2, v1
	v_fma_f16 v2, v37, s8, v36
	;; [unrolled: 1-line block ×6, first 2 shown]
	v_pack_b32_f16 v1, v1, v2
	v_sub_f16_e32 v8, v5, v25
	v_sub_f16_e32 v9, v23, v7
	ds_write_b32 v152, v1 offset:400
	v_add_f16_e32 v1, v25, v7
	v_add_f16_e32 v2, v5, v23
	v_lshrrev_b32_e32 v3, 16, v0
	v_add_f16_e32 v8, v8, v9
	v_sub_f16_e32 v9, v4, v21
	v_sub_f16_e32 v10, v20, v6
	v_fma_f16 v1, v1, -0.5, v0
	v_fma_f16 v2, v2, -0.5, v0
	v_add_f16_e32 v0, v0, v5
	v_add_f16_e32 v9, v9, v10
	;; [unrolled: 1-line block ×10, first 2 shown]
	v_pack_b32_f16 v0, v0, v10
	v_sub_f16_e32 v10, v4, v20
	v_fma_f16 v24, v24, -0.5, v3
	v_sub_f16_e32 v26, v5, v23
	v_fma_f16 v11, v10, s8, v1
	v_sub_f16_e32 v22, v21, v6
	v_fma_f16 v27, v26, s2, v24
	;; [unrolled: 2-line block ×3, first 2 shown]
	v_fma_f16 v27, v28, s3, v27
	v_fma_f16 v11, v8, s6, v11
	;; [unrolled: 1-line block ×3, first 2 shown]
	v_pack_b32_f16 v11, v11, v27
	ds_write2_b32 v153, v0, v11 offset1:25
	v_sub_f16_e32 v0, v25, v5
	v_sub_f16_e32 v5, v7, v23
	v_add_f16_e32 v0, v0, v5
	v_fma_f16 v5, v22, s2, v2
	v_fma_f16 v2, v22, s8, v2
	v_fma_f16 v5, v10, s7, v5
	v_fma_f16 v2, v10, s3, v2
	v_fma_f16 v5, v0, s6, v5
	v_fma_f16 v0, v0, s6, v2
	v_add_f16_e32 v2, v4, v20
	v_fma_f16 v2, v2, -0.5, v3
	v_sub_f16_e32 v3, v21, v4
	v_sub_f16_e32 v4, v6, v20
	v_add_f16_e32 v3, v3, v4
	v_fma_f16 v4, v28, s8, v2
	v_fma_f16 v2, v28, s2, v2
	;; [unrolled: 1-line block ×6, first 2 shown]
	v_pack_b32_f16 v3, v5, v4
	v_pack_b32_f16 v0, v0, v2
	ds_write2_b32 v153, v3, v0 offset0:50 offset1:75
	v_fma_f16 v0, v10, s2, v1
	v_fma_f16 v1, v26, s8, v24
	;; [unrolled: 1-line block ×6, first 2 shown]
	v_pack_b32_f16 v0, v0, v1
	ds_write_b32 v153, v0 offset:400
	s_waitcnt lgkmcnt(0)
	s_barrier
	ds_read2_b32 v[0:1], v131 offset0:110 offset1:235
	ds_read2_b32 v[2:3], v129 offset0:92 offset1:217
	;; [unrolled: 1-line block ×4, first 2 shown]
	ds_read_b32 v8, v76 offset:12000
	s_waitcnt lgkmcnt(4)
	v_lshrrev_b32_e32 v4, 16, v1
	v_mul_f16_sdwa v5, v52, v1 dst_sel:DWORD dst_unused:UNUSED_PAD src0_sel:WORD_1 src1_sel:DWORD
	v_fma_f16 v23, v52, v4, -v5
	v_mul_f16_sdwa v4, v52, v4 dst_sel:DWORD dst_unused:UNUSED_PAD src0_sel:WORD_1 src1_sel:DWORD
	v_fma_f16 v28, v52, v1, v4
	s_waitcnt lgkmcnt(3)
	v_lshrrev_b32_e32 v1, 16, v2
	v_mul_f16_sdwa v4, v53, v2 dst_sel:DWORD dst_unused:UNUSED_PAD src0_sel:WORD_1 src1_sel:DWORD
	v_fma_f16 v27, v53, v1, -v4
	ds_read2_b32 v[4:5], v124 offset0:62 offset1:187
	v_mul_f16_sdwa v1, v53, v1 dst_sel:DWORD dst_unused:UNUSED_PAD src0_sel:WORD_1 src1_sel:DWORD
	v_fma_f16 v36, v53, v2, v1
	s_waitcnt lgkmcnt(3)
	v_lshrrev_b32_e32 v1, 16, v41
	v_mul_f16_sdwa v2, v54, v41 dst_sel:DWORD dst_unused:UNUSED_PAD src0_sel:WORD_1 src1_sel:DWORD
	v_fma_f16 v31, v54, v1, -v2
	v_mul_f16_sdwa v1, v54, v1 dst_sel:DWORD dst_unused:UNUSED_PAD src0_sel:WORD_1 src1_sel:DWORD
	v_fma_f16 v38, v54, v41, v1
	s_waitcnt lgkmcnt(0)
	v_lshrrev_b32_e32 v1, 16, v4
	v_mul_f16_sdwa v2, v55, v4 dst_sel:DWORD dst_unused:UNUSED_PAD src0_sel:WORD_1 src1_sel:DWORD
	v_fma_f16 v37, v55, v1, -v2
	v_mul_f16_sdwa v1, v55, v1 dst_sel:DWORD dst_unused:UNUSED_PAD src0_sel:WORD_1 src1_sel:DWORD
	v_fma_f16 v39, v55, v4, v1
	v_lshrrev_b32_e32 v1, 16, v3
	v_mul_f16_sdwa v2, v61, v1 dst_sel:DWORD dst_unused:UNUSED_PAD src0_sel:WORD_1 src1_sel:DWORD
	v_fma_f16 v20, v61, v3, v2
	v_mul_f16_sdwa v2, v61, v3 dst_sel:DWORD dst_unused:UNUSED_PAD src0_sel:WORD_1 src1_sel:DWORD
	v_fma_f16 v9, v61, v1, -v2
	ds_read2_b32 v[2:3], v113 offset0:104 offset1:229
	v_lshrrev_b32_e32 v1, 16, v5
	v_mul_f16_sdwa v4, v63, v1 dst_sel:DWORD dst_unused:UNUSED_PAD src0_sel:WORD_1 src1_sel:DWORD
	v_fma_f16 v25, v63, v5, v4
	v_mul_f16_sdwa v4, v63, v5 dst_sel:DWORD dst_unused:UNUSED_PAD src0_sel:WORD_1 src1_sel:DWORD
	v_fma_f16 v21, v63, v1, -v4
	s_waitcnt lgkmcnt(0)
	v_lshrrev_b32_e32 v1, 16, v2
	v_mul_f16_sdwa v4, v60, v2 dst_sel:DWORD dst_unused:UNUSED_PAD src0_sel:WORD_1 src1_sel:DWORD
	v_fma_f16 v24, v60, v1, -v4
	v_mul_f16_sdwa v1, v60, v1 dst_sel:DWORD dst_unused:UNUSED_PAD src0_sel:WORD_1 src1_sel:DWORD
	v_fma_f16 v29, v60, v2, v1
	v_lshrrev_b32_e32 v1, 16, v10
	v_mul_f16_sdwa v2, v62, v10 dst_sel:DWORD dst_unused:UNUSED_PAD src0_sel:WORD_1 src1_sel:DWORD
	v_fma_f16 v26, v62, v1, -v2
	v_mul_f16_sdwa v1, v62, v1 dst_sel:DWORD dst_unused:UNUSED_PAD src0_sel:WORD_1 src1_sel:DWORD
	v_fma_f16 v30, v62, v10, v1
	v_lshrrev_b32_e32 v1, 16, v3
	v_mul_f16_sdwa v2, v56, v1 dst_sel:DWORD dst_unused:UNUSED_PAD src0_sel:WORD_1 src1_sel:DWORD
	v_fma_f16 v5, v56, v3, v2
	v_mul_f16_sdwa v2, v56, v3 dst_sel:DWORD dst_unused:UNUSED_PAD src0_sel:WORD_1 src1_sel:DWORD
	v_fma_f16 v4, v56, v1, -v2
	v_lshrrev_b32_e32 v1, 16, v11
	v_mul_f16_sdwa v2, v58, v1 dst_sel:DWORD dst_unused:UNUSED_PAD src0_sel:WORD_1 src1_sel:DWORD
	v_fma_f16 v7, v58, v11, v2
	v_mul_f16_sdwa v2, v58, v11 dst_sel:DWORD dst_unused:UNUSED_PAD src0_sel:WORD_1 src1_sel:DWORD
	v_fma_f16 v6, v58, v1, -v2
	ds_read2_b32 v[2:3], v134 offset0:86 offset1:211
	v_lshrrev_b32_e32 v1, 16, v8
	v_mul_f16_sdwa v10, v59, v1 dst_sel:DWORD dst_unused:UNUSED_PAD src0_sel:WORD_1 src1_sel:DWORD
	v_fma_f16 v11, v59, v8, v10
	v_mul_f16_sdwa v8, v59, v8 dst_sel:DWORD dst_unused:UNUSED_PAD src0_sel:WORD_1 src1_sel:DWORD
	v_fma_f16 v8, v59, v1, -v8
	s_waitcnt lgkmcnt(0)
	v_lshrrev_b32_e32 v1, 16, v2
	v_mul_f16_sdwa v10, v57, v2 dst_sel:DWORD dst_unused:UNUSED_PAD src0_sel:WORD_1 src1_sel:DWORD
	v_fma_f16 v10, v57, v1, -v10
	v_mul_f16_sdwa v1, v57, v1 dst_sel:DWORD dst_unused:UNUSED_PAD src0_sel:WORD_1 src1_sel:DWORD
	v_fma_f16 v22, v57, v2, v1
	v_lshrrev_b32_e32 v1, 16, v3
	v_mul_f16_sdwa v2, v14, v1 dst_sel:DWORD dst_unused:UNUSED_PAD src0_sel:WORD_1 src1_sel:DWORD
	v_fma_f16 v41, v14, v3, v2
	v_mul_f16_sdwa v2, v14, v3 dst_sel:DWORD dst_unused:UNUSED_PAD src0_sel:WORD_1 src1_sel:DWORD
	v_fma_f16 v42, v14, v1, -v2
	ds_read2_b32 v[2:3], v135 offset0:98 offset1:223
	v_lshrrev_b32_e32 v1, 16, v0
	v_mul_f16_sdwa v43, v12, v1 dst_sel:DWORD dst_unused:UNUSED_PAD src0_sel:WORD_1 src1_sel:DWORD
	v_fma_f16 v43, v12, v0, v43
	v_mul_f16_sdwa v0, v12, v0 dst_sel:DWORD dst_unused:UNUSED_PAD src0_sel:WORD_1 src1_sel:DWORD
	v_fma_f16 v44, v12, v1, -v0
	s_waitcnt lgkmcnt(0)
	v_lshrrev_b32_e32 v0, 16, v2
	v_mul_f16_sdwa v1, v13, v2 dst_sel:DWORD dst_unused:UNUSED_PAD src0_sel:WORD_1 src1_sel:DWORD
	v_fma_f16 v45, v13, v0, -v1
	v_mul_f16_sdwa v0, v13, v0 dst_sel:DWORD dst_unused:UNUSED_PAD src0_sel:WORD_1 src1_sel:DWORD
	v_fma_f16 v46, v13, v2, v0
	v_lshrrev_b32_e32 v0, 16, v3
	v_mul_f16_sdwa v1, v13, v0 dst_sel:DWORD dst_unused:UNUSED_PAD src0_sel:WORD_1 src1_sel:DWORD
	v_fma_f16 v47, v13, v3, v1
	v_mul_f16_sdwa v1, v13, v3 dst_sel:DWORD dst_unused:UNUSED_PAD src0_sel:WORD_1 src1_sel:DWORD
	ds_read2_b32 v[2:3], v133 offset0:68 offset1:193
	v_fma_f16 v48, v13, v0, -v1
	v_lshrrev_b32_e32 v0, 16, v40
	v_mul_f16_sdwa v1, v14, v0 dst_sel:DWORD dst_unused:UNUSED_PAD src0_sel:WORD_1 src1_sel:DWORD
	v_fma_f16 v49, v14, v40, v1
	v_mul_f16_sdwa v1, v14, v40 dst_sel:DWORD dst_unused:UNUSED_PAD src0_sel:WORD_1 src1_sel:DWORD
	v_fma_f16 v14, v14, v0, -v1
	s_waitcnt lgkmcnt(0)
	v_lshrrev_b32_e32 v0, 16, v2
	v_mul_f16_sdwa v1, v15, v2 dst_sel:DWORD dst_unused:UNUSED_PAD src0_sel:WORD_1 src1_sel:DWORD
	v_fma_f16 v40, v15, v0, -v1
	v_mul_f16_sdwa v0, v15, v0 dst_sel:DWORD dst_unused:UNUSED_PAD src0_sel:WORD_1 src1_sel:DWORD
	v_fma_f16 v50, v15, v2, v0
	ds_read2_b32 v[0:1], v136 offset0:116 offset1:241
	v_lshrrev_b32_e32 v2, 16, v3
	v_mul_f16_sdwa v13, v15, v2 dst_sel:DWORD dst_unused:UNUSED_PAD src0_sel:WORD_1 src1_sel:DWORD
	v_fma_f16 v51, v15, v3, v13
	v_mul_f16_sdwa v3, v15, v3 dst_sel:DWORD dst_unused:UNUSED_PAD src0_sel:WORD_1 src1_sel:DWORD
	v_fma_f16 v15, v15, v2, -v3
	s_waitcnt lgkmcnt(0)
	v_lshrrev_b32_e32 v2, 16, v1
	v_mul_f16_sdwa v3, v12, v1 dst_sel:DWORD dst_unused:UNUSED_PAD src0_sel:WORD_1 src1_sel:DWORD
	v_fma_f16 v52, v12, v2, -v3
	v_mul_f16_sdwa v2, v12, v2 dst_sel:DWORD dst_unused:UNUSED_PAD src0_sel:WORD_1 src1_sel:DWORD
	v_fma_f16 v1, v12, v1, v2
	ds_read2_b32 v[2:3], v76 offset1:125
	v_sub_f16_e32 v12, v1, v46
	v_sub_f16_e32 v13, v50, v41
	v_add_f16_e32 v53, v12, v13
	v_sub_f16_e32 v12, v52, v45
	v_sub_f16_e32 v13, v40, v42
	s_waitcnt lgkmcnt(0)
	v_lshrrev_b32_e32 v55, 16, v2
	v_add_f16_e32 v54, v12, v13
	v_add_f16_e32 v12, v2, v1
	;; [unrolled: 1-line block ×9, first 2 shown]
	v_pack_b32_f16 v56, v12, v13
	v_add_f16_e32 v12, v46, v41
	v_sub_f16_e32 v61, v1, v50
	v_sub_f16_e32 v62, v46, v41
	;; [unrolled: 1-line block ×3, first 2 shown]
	v_add_f16_e32 v1, v1, v50
	v_sub_f16_e32 v59, v45, v42
	v_fma_f16 v1, v1, -0.5, v2
	v_fma_f16 v57, v12, -0.5, v2
	v_sub_f16_e32 v58, v52, v40
	v_sub_f16_e32 v41, v41, v50
	v_fma_f16 v2, v59, s2, v1
	v_fma_f16 v1, v59, s8, v1
	v_add_f16_e32 v41, v46, v41
	v_fma_f16 v2, v58, s7, v2
	v_fma_f16 v1, v58, s3, v1
	v_add_f16_e32 v13, v45, v42
	;; [unrolled: 3-line block ×3, first 2 shown]
	v_fma_f16 v60, v13, -0.5, v55
	v_fma_f16 v41, v41, -0.5, v55
	v_fma_f16 v12, v58, s8, v57
	v_fma_f16 v13, v61, s2, v60
	v_sub_f16_e32 v45, v45, v52
	v_sub_f16_e32 v40, v42, v40
	v_fma_f16 v42, v62, s8, v41
	v_fma_f16 v41, v62, s2, v41
	v_fma_f16 v12, v59, s7, v12
	v_fma_f16 v13, v62, s3, v13
	v_add_f16_e32 v40, v45, v40
	v_fma_f16 v42, v61, s3, v42
	v_fma_f16 v41, v61, s7, v41
	;; [unrolled: 1-line block ×6, first 2 shown]
	v_pack_b32_f16 v63, v12, v13
	v_pack_b32_f16 v2, v2, v42
	;; [unrolled: 1-line block ×3, first 2 shown]
	ds_read2_b32 v[12:13], v122 offset0:122 offset1:247
	s_waitcnt lgkmcnt(0)
	s_barrier
	ds_write2_b32 v76, v56, v63 offset1:125
	ds_write2_b32 v122, v2, v1 offset0:122 offset1:247
	v_fma_f16 v1, v58, s2, v57
	v_fma_f16 v2, v61, s8, v60
	;; [unrolled: 1-line block ×4, first 2 shown]
	v_add_f16_e32 v40, v47, v49
	v_add_f16_e32 v41, v43, v51
	v_fma_f16 v1, v53, s6, v1
	v_fma_f16 v2, v54, s6, v2
	v_fma_f16 v40, v40, -0.5, v3
	v_fma_f16 v41, v41, -0.5, v3
	v_lshrrev_b32_e32 v42, 16, v3
	v_add_f16_e32 v3, v3, v43
	v_pack_b32_f16 v1, v1, v2
	v_add_f16_e32 v2, v3, v47
	v_add_f16_e32 v3, v42, v44
	;; [unrolled: 1-line block ×7, first 2 shown]
	v_pack_b32_f16 v2, v2, v3
	ds_write2_b32 v136, v1, v2 offset0:116 offset1:241
	v_sub_f16_e32 v1, v43, v47
	v_sub_f16_e32 v2, v51, v49
	v_add_f16_e32 v1, v1, v2
	v_sub_f16_e32 v2, v47, v43
	v_sub_f16_e32 v3, v49, v51
	;; [unrolled: 1-line block ×4, first 2 shown]
	v_add_f16_e32 v2, v2, v3
	v_sub_f16_e32 v3, v43, v51
	v_sub_f16_e32 v43, v47, v49
	v_add_f16_e32 v45, v45, v46
	v_add_f16_e32 v46, v48, v14
	;; [unrolled: 1-line block ×3, first 2 shown]
	v_fma_f16 v46, v46, -0.5, v42
	v_fma_f16 v42, v47, -0.5, v42
	v_sub_f16_e32 v47, v44, v15
	v_sub_f16_e32 v44, v48, v44
	;; [unrolled: 1-line block ×4, first 2 shown]
	v_add_f16_e32 v14, v44, v14
	v_fma_f16 v15, v47, s8, v40
	v_fma_f16 v44, v3, s2, v46
	;; [unrolled: 1-line block ×6, first 2 shown]
	v_pack_b32_f16 v15, v15, v44
	v_fma_f16 v44, v48, s2, v41
	v_fma_f16 v49, v43, s8, v42
	;; [unrolled: 1-line block ×6, first 2 shown]
	v_pack_b32_f16 v44, v44, v49
	ds_write2_b32 v131, v15, v44 offset0:110 offset1:235
	v_fma_f16 v15, v47, s2, v40
	v_fma_f16 v15, v48, s3, v15
	;; [unrolled: 1-line block ×12, first 2 shown]
	v_pack_b32_f16 v2, v2, v3
	v_pack_b32_f16 v1, v1, v15
	ds_write2_b32 v113, v2, v1 offset0:104 offset1:229
	v_sub_f16_e32 v1, v28, v36
	v_sub_f16_e32 v2, v39, v38
	v_add_f16_e32 v1, v1, v2
	v_sub_f16_e32 v2, v23, v27
	v_sub_f16_e32 v3, v37, v31
	v_lshrrev_b32_e32 v14, 16, v12
	v_add_f16_e32 v2, v2, v3
	v_add_f16_e32 v3, v12, v28
	;; [unrolled: 1-line block ×9, first 2 shown]
	v_pack_b32_f16 v3, v3, v15
	v_add_f16_e32 v15, v36, v38
	v_add_f16_e32 v43, v27, v31
	v_fma_f16 v15, v15, -0.5, v12
	v_sub_f16_e32 v40, v23, v37
	v_fma_f16 v43, v43, -0.5, v14
	v_sub_f16_e32 v44, v28, v39
	v_fma_f16 v41, v40, s8, v15
	v_sub_f16_e32 v42, v27, v31
	v_fma_f16 v45, v44, s2, v43
	;; [unrolled: 2-line block ×3, first 2 shown]
	v_fma_f16 v45, v46, s3, v45
	v_fma_f16 v41, v1, s6, v41
	;; [unrolled: 1-line block ×3, first 2 shown]
	v_pack_b32_f16 v41, v41, v45
	ds_write2_b32 v156, v3, v41 offset0:98 offset1:223
	v_sub_f16_e32 v3, v36, v28
	v_add_f16_e32 v28, v28, v39
	v_fma_f16 v12, v28, -0.5, v12
	v_sub_f16_e32 v36, v38, v39
	v_fma_f16 v28, v42, s2, v12
	v_fma_f16 v12, v42, s8, v12
	v_add_f16_e32 v3, v3, v36
	v_fma_f16 v28, v40, s7, v28
	v_fma_f16 v12, v40, s3, v12
	;; [unrolled: 1-line block ×4, first 2 shown]
	v_add_f16_e32 v12, v23, v37
	v_fma_f16 v12, v12, -0.5, v14
	v_sub_f16_e32 v14, v27, v23
	v_sub_f16_e32 v23, v31, v37
	v_add_f16_e32 v14, v14, v23
	v_fma_f16 v23, v46, s8, v12
	v_fma_f16 v12, v46, s2, v12
	;; [unrolled: 1-line block ×6, first 2 shown]
	v_pack_b32_f16 v14, v28, v23
	v_pack_b32_f16 v3, v3, v12
	ds_write2_b32 v157, v14, v3 offset0:92 offset1:217
	v_sub_f16_e32 v3, v29, v20
	v_sub_f16_e32 v12, v25, v30
	v_add_f16_e32 v3, v3, v12
	v_sub_f16_e32 v12, v24, v9
	v_sub_f16_e32 v14, v21, v26
	v_lshrrev_b32_e32 v23, 16, v13
	v_add_f16_e32 v12, v12, v14
	v_add_f16_e32 v14, v13, v29
	;; [unrolled: 1-line block ×9, first 2 shown]
	v_pack_b32_f16 v14, v14, v27
	v_add_f16_e32 v27, v20, v30
	v_add_f16_e32 v37, v9, v26
	v_fma_f16 v27, v27, -0.5, v13
	v_sub_f16_e32 v28, v24, v21
	v_fma_f16 v37, v37, -0.5, v23
	v_sub_f16_e32 v38, v29, v25
	v_fma_f16 v31, v28, s8, v27
	v_sub_f16_e32 v36, v9, v26
	v_fma_f16 v39, v38, s2, v37
	;; [unrolled: 2-line block ×3, first 2 shown]
	v_fma_f16 v39, v41, s3, v39
	v_fma_f16 v31, v3, s6, v31
	;; [unrolled: 1-line block ×3, first 2 shown]
	v_pack_b32_f16 v31, v31, v39
	ds_write2_b32 v159, v14, v31 offset0:83 offset1:208
	v_add_f16_e32 v14, v29, v25
	v_fma_f16 v13, v14, -0.5, v13
	v_sub_f16_e32 v14, v20, v29
	v_sub_f16_e32 v20, v30, v25
	v_add_f16_e32 v14, v14, v20
	v_fma_f16 v20, v36, s2, v13
	v_fma_f16 v13, v36, s8, v13
	;; [unrolled: 1-line block ×6, first 2 shown]
	v_add_f16_e32 v14, v24, v21
	v_fma_f16 v14, v14, -0.5, v23
	v_sub_f16_e32 v9, v9, v24
	v_sub_f16_e32 v21, v26, v21
	v_add_f16_e32 v9, v9, v21
	v_fma_f16 v21, v41, s8, v14
	v_fma_f16 v14, v41, s2, v14
	;; [unrolled: 1-line block ×6, first 2 shown]
	v_pack_b32_f16 v14, v20, v21
	v_pack_b32_f16 v9, v13, v9
	ds_write2_b32 v158, v14, v9 offset0:77 offset1:202
	v_sub_f16_e32 v9, v5, v22
	v_sub_f16_e32 v13, v11, v7
	v_add_f16_e32 v9, v9, v13
	v_sub_f16_e32 v13, v4, v10
	v_sub_f16_e32 v14, v8, v6
	v_lshrrev_b32_e32 v20, 16, v0
	v_add_f16_e32 v13, v13, v14
	v_add_f16_e32 v14, v0, v5
	;; [unrolled: 1-line block ×9, first 2 shown]
	v_pack_b32_f16 v14, v14, v21
	v_add_f16_e32 v21, v22, v7
	v_add_f16_e32 v26, v10, v6
	v_fma_f16 v21, v21, -0.5, v0
	v_sub_f16_e32 v23, v4, v8
	v_fma_f16 v26, v26, -0.5, v20
	v_sub_f16_e32 v29, v5, v11
	v_fma_f16 v24, v23, s8, v21
	v_sub_f16_e32 v25, v10, v6
	v_fma_f16 v30, v29, s2, v26
	;; [unrolled: 2-line block ×3, first 2 shown]
	v_fma_f16 v30, v31, s3, v30
	v_fma_f16 v24, v9, s6, v24
	;; [unrolled: 1-line block ×3, first 2 shown]
	v_pack_b32_f16 v24, v24, v30
	ds_write2_b32 v161, v14, v24 offset0:68 offset1:193
	v_add_f16_e32 v14, v5, v11
	v_fma_f16 v0, v14, -0.5, v0
	v_sub_f16_e32 v5, v22, v5
	v_sub_f16_e32 v7, v7, v11
	v_add_f16_e32 v5, v5, v7
	v_fma_f16 v7, v25, s2, v0
	v_fma_f16 v0, v25, s8, v0
	;; [unrolled: 1-line block ×6, first 2 shown]
	v_add_f16_e32 v5, v4, v8
	v_fma_f16 v5, v5, -0.5, v20
	v_sub_f16_e32 v4, v10, v4
	v_sub_f16_e32 v6, v6, v8
	v_add_f16_e32 v4, v4, v6
	v_fma_f16 v6, v31, s8, v5
	v_fma_f16 v5, v31, s2, v5
	;; [unrolled: 1-line block ×6, first 2 shown]
	v_pack_b32_f16 v5, v7, v6
	v_pack_b32_f16 v0, v0, v4
	ds_write2_b32 v160, v5, v0 offset0:62 offset1:187
	v_fma_f16 v0, v40, s2, v15
	v_fma_f16 v0, v42, s3, v0
	v_fma_f16 v0, v1, s6, v0
	v_fma_f16 v1, v44, s8, v43
	v_fma_f16 v1, v46, s7, v1
	v_fma_f16 v1, v2, s6, v1
	v_pack_b32_f16 v0, v0, v1
	ds_write_b32 v77, v0 offset:7000
	v_fma_f16 v0, v28, s2, v27
	v_fma_f16 v1, v38, s8, v37
	v_fma_f16 v0, v36, s3, v0
	v_fma_f16 v1, v41, s7, v1
	v_fma_f16 v0, v3, s6, v0
	v_fma_f16 v1, v12, s6, v1
	v_pack_b32_f16 v0, v0, v1
	ds_write_b32 v154, v0 offset:9500
	;; [unrolled: 8-line block ×3, first 2 shown]
	s_waitcnt lgkmcnt(0)
	s_barrier
	ds_read2_b32 v[0:1], v131 offset0:110 offset1:235
	ds_read2_b32 v[2:3], v135 offset0:98 offset1:223
	;; [unrolled: 1-line block ×3, first 2 shown]
	s_waitcnt lgkmcnt(2)
	v_lshrrev_b32_e32 v4, 16, v0
	v_mul_f16_sdwa v5, v32, v0 dst_sel:DWORD dst_unused:UNUSED_PAD src0_sel:WORD_1 src1_sel:DWORD
	v_fma_f16 v27, v32, v4, -v5
	v_mul_f16_sdwa v4, v32, v4 dst_sel:DWORD dst_unused:UNUSED_PAD src0_sel:WORD_1 src1_sel:DWORD
	v_fma_f16 v32, v32, v0, v4
	ds_read2_b32 v[4:5], v127 offset0:80 offset1:205
	s_waitcnt lgkmcnt(2)
	v_lshrrev_b32_e32 v0, 16, v3
	v_mul_f16_sdwa v6, v33, v3 dst_sel:DWORD dst_unused:UNUSED_PAD src0_sel:WORD_1 src1_sel:DWORD
	v_fma_f16 v36, v33, v0, -v6
	v_mul_f16_sdwa v0, v33, v0 dst_sel:DWORD dst_unused:UNUSED_PAD src0_sel:WORD_1 src1_sel:DWORD
	v_fma_f16 v37, v33, v3, v0
	s_waitcnt lgkmcnt(0)
	v_lshrrev_b32_e32 v0, 16, v4
	v_mul_f16_sdwa v3, v34, v4 dst_sel:DWORD dst_unused:UNUSED_PAD src0_sel:WORD_1 src1_sel:DWORD
	v_fma_f16 v38, v34, v0, -v3
	v_mul_f16_sdwa v0, v34, v0 dst_sel:DWORD dst_unused:UNUSED_PAD src0_sel:WORD_1 src1_sel:DWORD
	v_fma_f16 v34, v34, v4, v0
	v_lshrrev_b32_e32 v0, 16, v41
	v_mul_f16_sdwa v3, v35, v41 dst_sel:DWORD dst_unused:UNUSED_PAD src0_sel:WORD_1 src1_sel:DWORD
	v_fma_f16 v39, v35, v0, -v3
	v_mul_f16_sdwa v0, v35, v0 dst_sel:DWORD dst_unused:UNUSED_PAD src0_sel:WORD_1 src1_sel:DWORD
	v_fma_f16 v35, v35, v41, v0
	v_lshrrev_b32_e32 v0, 16, v1
	v_mul_f16_sdwa v3, v64, v0 dst_sel:DWORD dst_unused:UNUSED_PAD src0_sel:WORD_1 src1_sel:DWORD
	v_fma_f16 v13, v64, v1, v3
	v_mul_f16_sdwa v1, v64, v1 dst_sel:DWORD dst_unused:UNUSED_PAD src0_sel:WORD_1 src1_sel:DWORD
	v_lshrrev_b32_e32 v3, 16, v5
	v_fma_f16 v11, v64, v0, -v1
	ds_read2_b32 v[0:1], v129 offset0:92 offset1:217
	v_mul_f16_sdwa v4, v66, v3 dst_sel:DWORD dst_unused:UNUSED_PAD src0_sel:WORD_1 src1_sel:DWORD
	v_fma_f16 v23, v66, v5, v4
	v_mul_f16_sdwa v4, v66, v5 dst_sel:DWORD dst_unused:UNUSED_PAD src0_sel:WORD_1 src1_sel:DWORD
	v_fma_f16 v20, v66, v3, -v4
	ds_read2_b32 v[4:5], v124 offset0:62 offset1:187
	s_waitcnt lgkmcnt(1)
	v_lshrrev_b32_e32 v3, 16, v0
	v_mul_f16_sdwa v6, v65, v0 dst_sel:DWORD dst_unused:UNUSED_PAD src0_sel:WORD_1 src1_sel:DWORD
	v_fma_f16 v26, v65, v3, -v6
	v_mul_f16_sdwa v3, v65, v3 dst_sel:DWORD dst_unused:UNUSED_PAD src0_sel:WORD_1 src1_sel:DWORD
	v_fma_f16 v29, v65, v0, v3
	s_waitcnt lgkmcnt(0)
	v_lshrrev_b32_e32 v0, 16, v4
	v_mul_f16_sdwa v3, v67, v4 dst_sel:DWORD dst_unused:UNUSED_PAD src0_sel:WORD_1 src1_sel:DWORD
	v_fma_f16 v28, v67, v0, -v3
	v_mul_f16_sdwa v0, v67, v0 dst_sel:DWORD dst_unused:UNUSED_PAD src0_sel:WORD_1 src1_sel:DWORD
	v_fma_f16 v31, v67, v4, v0
	v_lshrrev_b32_e32 v0, 16, v1
	v_mul_f16_sdwa v3, v69, v0 dst_sel:DWORD dst_unused:UNUSED_PAD src0_sel:WORD_1 src1_sel:DWORD
	v_fma_f16 v14, v69, v1, v3
	v_mul_f16_sdwa v1, v69, v1 dst_sel:DWORD dst_unused:UNUSED_PAD src0_sel:WORD_1 src1_sel:DWORD
	v_lshrrev_b32_e32 v3, 16, v5
	v_fma_f16 v8, v69, v0, -v1
	ds_read2_b32 v[0:1], v113 offset0:104 offset1:229
	v_mul_f16_sdwa v4, v71, v3 dst_sel:DWORD dst_unused:UNUSED_PAD src0_sel:WORD_1 src1_sel:DWORD
	v_fma_f16 v25, v71, v5, v4
	v_mul_f16_sdwa v4, v71, v5 dst_sel:DWORD dst_unused:UNUSED_PAD src0_sel:WORD_1 src1_sel:DWORD
	v_fma_f16 v12, v71, v3, -v4
	ds_read2_b32 v[4:5], v110 offset0:74 offset1:199
	s_waitcnt lgkmcnt(1)
	v_lshrrev_b32_e32 v3, 16, v0
	v_mul_f16_sdwa v6, v68, v0 dst_sel:DWORD dst_unused:UNUSED_PAD src0_sel:WORD_1 src1_sel:DWORD
	v_fma_f16 v21, v68, v3, -v6
	v_mul_f16_sdwa v3, v68, v3 dst_sel:DWORD dst_unused:UNUSED_PAD src0_sel:WORD_1 src1_sel:DWORD
	v_fma_f16 v30, v68, v0, v3
	s_waitcnt lgkmcnt(0)
	v_lshrrev_b32_e32 v0, 16, v4
	v_mul_f16_sdwa v3, v70, v4 dst_sel:DWORD dst_unused:UNUSED_PAD src0_sel:WORD_1 src1_sel:DWORD
	v_fma_f16 v24, v70, v0, -v3
	v_mul_f16_sdwa v0, v70, v0 dst_sel:DWORD dst_unused:UNUSED_PAD src0_sel:WORD_1 src1_sel:DWORD
	v_fma_f16 v33, v70, v4, v0
	v_lshrrev_b32_e32 v0, 16, v1
	v_mul_f16_sdwa v3, v72, v0 dst_sel:DWORD dst_unused:UNUSED_PAD src0_sel:WORD_1 src1_sel:DWORD
	v_fma_f16 v6, v72, v1, v3
	v_mul_f16_sdwa v1, v72, v1 dst_sel:DWORD dst_unused:UNUSED_PAD src0_sel:WORD_1 src1_sel:DWORD
	v_fma_f16 v4, v72, v0, -v1
	v_lshrrev_b32_e32 v0, 16, v5
	ds_read_b32 v3, v76 offset:12000
	v_mul_f16_sdwa v1, v74, v0 dst_sel:DWORD dst_unused:UNUSED_PAD src0_sel:WORD_1 src1_sel:DWORD
	v_fma_f16 v10, v74, v5, v1
	v_mul_f16_sdwa v1, v74, v5 dst_sel:DWORD dst_unused:UNUSED_PAD src0_sel:WORD_1 src1_sel:DWORD
	v_fma_f16 v5, v74, v0, -v1
	ds_read2_b32 v[0:1], v134 offset0:86 offset1:211
	s_waitcnt lgkmcnt(1)
	v_lshrrev_b32_e32 v7, 16, v3
	v_mul_f16_sdwa v9, v75, v7 dst_sel:DWORD dst_unused:UNUSED_PAD src0_sel:WORD_1 src1_sel:DWORD
	v_fma_f16 v15, v75, v3, v9
	v_mul_f16_sdwa v3, v75, v3 dst_sel:DWORD dst_unused:UNUSED_PAD src0_sel:WORD_1 src1_sel:DWORD
	v_fma_f16 v7, v75, v7, -v3
	s_waitcnt lgkmcnt(0)
	v_lshrrev_b32_e32 v3, 16, v0
	v_mul_f16_sdwa v9, v73, v0 dst_sel:DWORD dst_unused:UNUSED_PAD src0_sel:WORD_1 src1_sel:DWORD
	v_fma_f16 v9, v73, v3, -v9
	v_mul_f16_sdwa v3, v73, v3 dst_sel:DWORD dst_unused:UNUSED_PAD src0_sel:WORD_1 src1_sel:DWORD
	v_fma_f16 v22, v73, v0, v3
	v_lshrrev_b32_e32 v0, 16, v2
	v_mul_f16_sdwa v3, v17, v0 dst_sel:DWORD dst_unused:UNUSED_PAD src0_sel:WORD_1 src1_sel:DWORD
	v_fma_f16 v41, v17, v2, v3
	v_mul_f16_sdwa v2, v17, v2 dst_sel:DWORD dst_unused:UNUSED_PAD src0_sel:WORD_1 src1_sel:DWORD
	v_fma_f16 v17, v17, v0, -v2
	v_lshrrev_b32_e32 v0, 16, v1
	v_mul_f16_sdwa v2, v18, v0 dst_sel:DWORD dst_unused:UNUSED_PAD src0_sel:WORD_1 src1_sel:DWORD
	v_fma_f16 v42, v18, v1, v2
	v_mul_f16_sdwa v1, v18, v1 dst_sel:DWORD dst_unused:UNUSED_PAD src0_sel:WORD_1 src1_sel:DWORD
	v_fma_f16 v18, v18, v0, -v1
	ds_read2_b32 v[0:1], v136 offset0:116 offset1:241
	v_lshrrev_b32_e32 v2, 16, v40
	v_mul_f16_sdwa v3, v19, v2 dst_sel:DWORD dst_unused:UNUSED_PAD src0_sel:WORD_1 src1_sel:DWORD
	v_fma_f16 v43, v19, v40, v3
	v_mul_f16_sdwa v3, v19, v40 dst_sel:DWORD dst_unused:UNUSED_PAD src0_sel:WORD_1 src1_sel:DWORD
	v_fma_f16 v19, v19, v2, -v3
	s_waitcnt lgkmcnt(0)
	v_lshrrev_b32_e32 v2, 16, v1
	v_mul_f16_sdwa v3, v16, v1 dst_sel:DWORD dst_unused:UNUSED_PAD src0_sel:WORD_1 src1_sel:DWORD
	v_fma_f16 v40, v16, v2, -v3
	v_mul_f16_sdwa v2, v16, v2 dst_sel:DWORD dst_unused:UNUSED_PAD src0_sel:WORD_1 src1_sel:DWORD
	v_fma_f16 v1, v16, v1, v2
	ds_read2_b32 v[2:3], v76 offset1:125
	v_sub_f16_e32 v16, v1, v41
	v_sub_f16_e32 v44, v43, v42
	v_add_f16_e32 v16, v16, v44
	v_add_f16_e32 v44, v41, v42
	s_waitcnt lgkmcnt(0)
	v_fma_f16 v44, v44, -0.5, v2
	v_sub_f16_e32 v45, v40, v19
	v_fma_f16 v46, v45, s8, v44
	v_sub_f16_e32 v47, v17, v18
	v_fma_f16 v44, v45, s2, v44
	v_fma_f16 v46, v47, s7, v46
	;; [unrolled: 1-line block ×5, first 2 shown]
	v_sub_f16_e32 v44, v41, v1
	v_sub_f16_e32 v48, v42, v43
	v_add_f16_e32 v44, v44, v48
	v_add_f16_e32 v48, v1, v43
	v_fma_f16 v48, v48, -0.5, v2
	v_fma_f16 v49, v47, s2, v48
	v_fma_f16 v47, v47, s8, v48
	v_fma_f16 v48, v45, s7, v49
	v_fma_f16 v45, v45, s3, v47
	v_fma_f16 v47, v44, s6, v48
	v_fma_f16 v44, v44, s6, v45
	v_add_f16_e32 v45, v2, v1
	v_add_f16_e32 v45, v45, v41
	;; [unrolled: 1-line block ×4, first 2 shown]
	v_sub_f16_e32 v1, v1, v43
	v_sub_f16_e32 v41, v41, v42
	;; [unrolled: 1-line block ×4, first 2 shown]
	v_add_f16_e32 v42, v42, v43
	v_lshrrev_b32_e32 v2, 16, v2
	v_add_f16_e32 v43, v17, v18
	v_fma_f16 v43, v43, -0.5, v2
	v_fma_f16 v48, v1, s2, v43
	v_fma_f16 v43, v1, s8, v43
	;; [unrolled: 1-line block ×6, first 2 shown]
	v_add_f16_e32 v43, v40, v19
	v_fma_f16 v43, v43, -0.5, v2
	v_add_f16_e32 v2, v2, v40
	v_add_f16_e32 v2, v2, v17
	v_sub_f16_e32 v17, v17, v40
	v_add_f16_e32 v2, v2, v18
	v_sub_f16_e32 v18, v18, v19
	v_add_f16_e32 v2, v2, v19
	v_add_f16_e32 v17, v17, v18
	v_fma_f16 v18, v41, s8, v43
	v_fma_f16 v19, v41, s2, v43
	;; [unrolled: 1-line block ×6, first 2 shown]
	v_pack_b32_f16 v17, v46, v48
	v_pack_b32_f16 v1, v44, v1
	ds_write_b32 v76, v17 offset:2500
	v_pack_b32_f16 v17, v47, v18
	ds_write_b32 v76, v1 offset:7500
	v_pack_b32_f16 v1, v16, v42
	v_lshrrev_b32_e32 v18, 16, v3
	ds_write_b32 v76, v1 offset:10000
	v_add_f16_e32 v1, v3, v32
	v_add_f16_e32 v16, v18, v27
	;; [unrolled: 1-line block ×8, first 2 shown]
	v_pack_b32_f16 v2, v45, v2
	v_pack_b32_f16 v1, v1, v16
	ds_write_b32 v76, v17 offset:5000
	ds_read2_b32 v[16:17], v122 offset0:122 offset1:247
	ds_write2_b32 v76, v2, v1 offset1:125
	v_sub_f16_e32 v1, v37, v32
	v_sub_f16_e32 v2, v34, v35
	v_add_f16_e32 v1, v1, v2
	v_sub_f16_e32 v2, v36, v27
	v_sub_f16_e32 v19, v38, v39
	v_add_f16_e32 v2, v2, v19
	;; [unrolled: 3-line block ×4, first 2 shown]
	v_add_f16_e32 v41, v32, v35
	v_add_f16_e32 v45, v27, v39
	v_fma_f16 v41, v41, -0.5, v3
	v_sub_f16_e32 v43, v36, v38
	v_fma_f16 v45, v45, -0.5, v18
	v_sub_f16_e32 v47, v37, v34
	v_sub_f16_e32 v42, v27, v39
	v_fma_f16 v44, v43, s2, v41
	v_sub_f16_e32 v46, v32, v35
	v_fma_f16 v48, v47, s8, v45
	v_fma_f16 v44, v42, s7, v44
	;; [unrolled: 1-line block ×5, first 2 shown]
	v_pack_b32_f16 v44, v44, v48
	v_add_f16_e32 v48, v13, v31
	s_waitcnt lgkmcnt(1)
	v_lshrrev_b32_e32 v52, 16, v16
	v_add_f16_e32 v53, v11, v28
	v_fma_f16 v48, v48, -0.5, v16
	v_sub_f16_e32 v50, v26, v20
	v_fma_f16 v53, v53, -0.5, v52
	v_sub_f16_e32 v55, v29, v23
	v_sub_f16_e32 v49, v11, v28
	v_fma_f16 v51, v50, s2, v48
	v_sub_f16_e32 v54, v13, v31
	v_fma_f16 v56, v55, s8, v53
	v_fma_f16 v51, v49, s7, v51
	;; [unrolled: 1-line block ×5, first 2 shown]
	v_pack_b32_f16 v51, v51, v56
	ds_write2_b32 v139, v44, v51 offset0:95 offset1:220
	v_add_f16_e32 v44, v37, v34
	v_sub_f16_e32 v32, v32, v37
	v_sub_f16_e32 v34, v35, v34
	v_add_f16_e32 v32, v32, v34
	v_add_f16_e32 v34, v36, v38
	v_fma_f16 v18, v34, -0.5, v18
	v_sub_f16_e32 v27, v27, v36
	v_sub_f16_e32 v34, v39, v38
	v_add_f16_e32 v27, v27, v34
	v_sub_f16_e32 v34, v13, v29
	v_sub_f16_e32 v35, v31, v23
	v_fma_f16 v3, v44, -0.5, v3
	v_add_f16_e32 v34, v34, v35
	v_sub_f16_e32 v35, v11, v26
	v_sub_f16_e32 v36, v28, v20
	v_add_f16_e32 v35, v35, v36
	v_fma_f16 v36, v42, s2, v3
	v_fma_f16 v37, v46, s8, v18
	;; [unrolled: 1-line block ×6, first 2 shown]
	v_pack_b32_f16 v36, v36, v37
	v_add_f16_e32 v37, v29, v23
	v_add_f16_e32 v39, v26, v20
	v_fma_f16 v3, v42, s8, v3
	v_fma_f16 v18, v46, s2, v18
	v_fma_f16 v37, v37, -0.5, v16
	v_fma_f16 v39, v39, -0.5, v52
	v_fma_f16 v3, v43, s7, v3
	v_fma_f16 v18, v47, s3, v18
	;; [unrolled: 1-line block ×10, first 2 shown]
	v_pack_b32_f16 v3, v3, v18
	v_pack_b32_f16 v18, v27, v32
	ds_write2_b32 v131, v3, v18 offset0:110 offset1:235
	v_fma_f16 v3, v43, s8, v41
	v_fma_f16 v3, v42, s3, v3
	;; [unrolled: 1-line block ×12, first 2 shown]
	v_pack_b32_f16 v1, v1, v2
	v_pack_b32_f16 v2, v3, v18
	ds_write2_b32 v127, v1, v2 offset0:80 offset1:205
	v_add_f16_e32 v2, v52, v11
	v_add_f16_e32 v3, v14, v33
	;; [unrolled: 1-line block ×4, first 2 shown]
	v_fma_f16 v3, v3, -0.5, v17
	v_fma_f16 v11, v11, -0.5, v17
	v_lshrrev_b32_e32 v13, 16, v17
	v_add_f16_e32 v16, v17, v30
	v_sub_f16_e32 v17, v30, v14
	v_sub_f16_e32 v18, v25, v33
	v_add_f16_e32 v2, v2, v26
	v_add_f16_e32 v17, v17, v18
	v_sub_f16_e32 v18, v21, v12
	v_add_f16_e32 v2, v2, v20
	v_fma_f16 v19, v18, s8, v3
	v_sub_f16_e32 v20, v8, v24
	v_fma_f16 v3, v18, s2, v3
	v_add_f16_e32 v1, v1, v29
	v_fma_f16 v19, v20, s7, v19
	v_fma_f16 v3, v20, s3, v3
	v_add_f16_e32 v1, v1, v23
	v_fma_f16 v19, v17, s6, v19
	v_fma_f16 v3, v17, s6, v3
	v_sub_f16_e32 v17, v14, v30
	v_sub_f16_e32 v23, v33, v25
	v_add_f16_e32 v17, v17, v23
	v_fma_f16 v23, v20, s2, v11
	v_fma_f16 v11, v20, s8, v11
	;; [unrolled: 1-line block ×5, first 2 shown]
	v_sub_f16_e32 v20, v21, v8
	v_sub_f16_e32 v23, v12, v24
	v_add_f16_e32 v16, v16, v14
	v_add_f16_e32 v20, v20, v23
	v_add_f16_e32 v23, v8, v24
	v_fma_f16 v11, v17, s6, v11
	v_add_f16_e32 v16, v16, v33
	v_sub_f16_e32 v17, v30, v25
	v_fma_f16 v23, v23, -0.5, v13
	v_add_f16_e32 v16, v16, v25
	v_sub_f16_e32 v14, v14, v33
	v_fma_f16 v25, v17, s2, v23
	v_fma_f16 v23, v17, s8, v23
	v_fma_f16 v25, v14, s3, v25
	v_fma_f16 v23, v14, s7, v23
	v_fma_f16 v25, v20, s6, v25
	v_fma_f16 v20, v20, s6, v23
	v_add_f16_e32 v23, v21, v12
	v_fma_f16 v23, v23, -0.5, v13
	v_add_f16_e32 v13, v13, v21
	v_add_f16_e32 v13, v13, v8
	;; [unrolled: 1-line block ×3, first 2 shown]
	v_sub_f16_e32 v8, v8, v21
	v_add_f16_e32 v13, v13, v12
	v_sub_f16_e32 v12, v24, v12
	v_add_f16_e32 v8, v8, v12
	v_fma_f16 v12, v14, s8, v23
	v_fma_f16 v14, v14, s2, v23
	;; [unrolled: 1-line block ×6, first 2 shown]
	v_add_f16_e32 v14, v22, v10
	v_add_f16_e32 v17, v6, v15
	v_sub_f16_e32 v23, v6, v22
	v_sub_f16_e32 v24, v15, v10
	v_fma_f16 v14, v14, -0.5, v0
	v_fma_f16 v17, v17, -0.5, v0
	v_lshrrev_b32_e32 v21, 16, v0
	v_add_f16_e32 v0, v0, v6
	v_add_f16_e32 v23, v23, v24
	v_sub_f16_e32 v24, v4, v7
	v_fma_f16 v26, v24, s8, v14
	v_sub_f16_e32 v27, v9, v5
	v_fma_f16 v14, v24, s2, v14
	v_add_f16_e32 v0, v0, v22
	v_fma_f16 v26, v27, s7, v26
	v_fma_f16 v14, v27, s3, v14
	v_add_f16_e32 v0, v0, v10
	v_add_f16_e32 v2, v2, v28
	v_fma_f16 v26, v23, s6, v26
	v_fma_f16 v14, v23, s6, v14
	v_sub_f16_e32 v23, v22, v6
	v_sub_f16_e32 v28, v10, v15
	v_add_f16_e32 v0, v0, v15
	v_sub_f16_e32 v6, v6, v15
	v_sub_f16_e32 v10, v22, v10
	;; [unrolled: 1-line block ×4, first 2 shown]
	v_add_f16_e32 v23, v23, v28
	v_fma_f16 v28, v27, s2, v17
	v_fma_f16 v17, v27, s8, v17
	v_add_f16_e32 v15, v15, v22
	v_add_f16_e32 v22, v9, v5
	v_fma_f16 v27, v24, s7, v28
	v_fma_f16 v17, v24, s3, v17
	v_fma_f16 v22, v22, -0.5, v21
	v_fma_f16 v24, v23, s6, v27
	v_fma_f16 v17, v23, s6, v17
	;; [unrolled: 1-line block ×8, first 2 shown]
	v_add_f16_e32 v22, v4, v7
	v_fma_f16 v22, v22, -0.5, v21
	v_add_f16_e32 v21, v21, v4
	v_add_f16_e32 v21, v21, v9
	v_sub_f16_e32 v4, v9, v4
	v_add_f16_e32 v9, v21, v5
	v_sub_f16_e32 v5, v5, v7
	v_add_f16_e32 v1, v1, v31
	v_add_f16_e32 v9, v9, v7
	;; [unrolled: 1-line block ×3, first 2 shown]
	v_fma_f16 v5, v10, s8, v22
	v_fma_f16 v7, v10, s2, v22
	;; [unrolled: 1-line block ×3, first 2 shown]
	v_pack_b32_f16 v1, v1, v2
	v_pack_b32_f16 v2, v16, v13
	;; [unrolled: 1-line block ×3, first 2 shown]
	v_fma_f16 v38, v49, s2, v37
	v_fma_f16 v44, v54, s8, v39
	;; [unrolled: 1-line block ×4, first 2 shown]
	ds_write2_b32 v122, v1, v2 offset0:122 offset1:247
	v_pack_b32_f16 v1, v19, v25
	ds_write_b32 v76, v0 offset:2000
	v_pack_b32_f16 v0, v26, v23
	v_fma_f16 v38, v50, s3, v38
	v_fma_f16 v44, v55, s7, v44
	v_fma_f16 v4, v4, s6, v6
	v_pack_b32_f16 v2, v18, v12
	ds_write2_b32 v113, v1, v0 offset0:104 offset1:229
	v_pack_b32_f16 v0, v24, v5
	v_fma_f16 v38, v34, s6, v38
	v_fma_f16 v44, v35, s6, v44
	v_pack_b32_f16 v6, v11, v8
	ds_write2_b32 v79, v2, v0 offset0:89 offset1:214
	v_pack_b32_f16 v0, v17, v4
	v_pack_b32_f16 v38, v38, v44
	;; [unrolled: 1-line block ×3, first 2 shown]
	ds_write2_b32 v110, v6, v0 offset0:74 offset1:199
	v_pack_b32_f16 v0, v14, v15
	ds_write2_b32 v138, v36, v38 offset0:65 offset1:190
	ds_write2_b32 v137, v3, v0 offset0:59 offset1:184
	s_waitcnt lgkmcnt(0)
	s_barrier
	ds_read2_b32 v[4:5], v76 offset1:125
	s_mov_b32 s2, 0x7aeb597c
	s_mov_b32 s3, 0x3f34fa6d
	s_movk_i32 s6, 0x1ff
	s_movk_i32 s7, 0xffe
	s_waitcnt lgkmcnt(0)
	v_lshrrev_b32_e32 v6, 16, v4
	v_mul_f16_sdwa v0, v132, v6 dst_sel:DWORD dst_unused:UNUSED_PAD src0_sel:WORD_1 src1_sel:DWORD
	v_fma_f16 v0, v132, v4, v0
	v_cvt_f32_f16_e32 v0, v0
	v_mov_b32_e32 v2, s0
	v_mov_b32_e32 v3, s1
	v_mul_f16_sdwa v4, v132, v4 dst_sel:DWORD dst_unused:UNUSED_PAD src0_sel:WORD_1 src1_sel:DWORD
	v_cvt_f64_f32_e32 v[0:1], v0
	v_mul_f64 v[0:1], v[0:1], s[2:3]
	v_and_or_b32 v0, v1, s6, v0
	v_cmp_ne_u32_e32 vcc, 0, v0
	v_lshrrev_b32_e32 v7, 8, v1
	v_bfe_u32 v8, v1, 20, 11
	v_cndmask_b32_e64 v0, 0, 1, vcc
	v_and_or_b32 v0, v7, s7, v0
	v_sub_u32_e32 v9, 0x3f1, v8
	v_or_b32_e32 v7, 0x1000, v0
	v_med3_i32 v9, v9, 0, 13
	v_lshrrev_b32_e32 v10, v9, v7
	v_lshlrev_b32_e32 v9, v9, v10
	v_cmp_ne_u32_e32 vcc, v9, v7
	v_add_u32_e32 v8, 0xfffffc10, v8
	v_lshl_or_b32 v9, v8, 12, v0
	v_cndmask_b32_e64 v7, 0, 1, vcc
	v_or_b32_e32 v7, v10, v7
	v_cmp_gt_i32_e32 vcc, 1, v8
	v_fma_f16 v4, v132, v6, -v4
	v_mov_b32_e32 v14, 0x7c00
	v_cndmask_b32_e32 v7, v9, v7, vcc
	v_and_b32_e32 v9, 7, v7
	v_cmp_lt_i32_e32 vcc, 5, v9
	v_cmp_eq_u32_e64 s[0:1], 3, v9
	v_lshrrev_b32_e32 v7, 2, v7
	s_or_b64 vcc, s[0:1], vcc
	v_addc_co_u32_e32 v7, vcc, 0, v7, vcc
	v_cmp_gt_i32_e32 vcc, 31, v8
	v_cvt_f32_f16_e32 v4, v4
	s_movk_i32 s8, 0x40f
	v_cndmask_b32_e32 v7, v14, v7, vcc
	v_cmp_ne_u32_e32 vcc, 0, v0
	v_and_b32_sdwa v11, v1, s10 dst_sel:DWORD dst_unused:UNUSED_PAD src0_sel:WORD_1 src1_sel:DWORD
	v_mov_b32_e32 v79, v82
	v_cndmask_b32_e64 v0, 0, 1, vcc
	v_lshl_or_b32 v0, v0, 9, v14
	v_cmp_eq_u32_e32 vcc, s8, v8
	v_lshl_add_u64 v[2:3], v[78:79], 2, v[2:3]
	s_nop 0
	v_cndmask_b32_e32 v10, v7, v0, vcc
	v_cvt_f64_f32_e32 v[0:1], v4
	v_mul_f64 v[0:1], v[0:1], s[2:3]
	v_and_or_b32 v0, v1, s6, v0
	v_cmp_ne_u32_e32 vcc, 0, v0
	v_lshrrev_b32_e32 v4, 8, v1
	v_bfe_u32 v6, v1, 20, 11
	v_cndmask_b32_e64 v0, 0, 1, vcc
	v_and_or_b32 v0, v4, s7, v0
	v_sub_u32_e32 v7, 0x3f1, v6
	v_or_b32_e32 v4, 0x1000, v0
	v_med3_i32 v7, v7, 0, 13
	v_lshrrev_b32_e32 v8, v7, v4
	v_lshlrev_b32_e32 v7, v7, v8
	v_cmp_ne_u32_e32 vcc, v7, v4
	v_add_u32_e32 v6, 0xfffffc10, v6
	v_lshl_or_b32 v7, v6, 12, v0
	v_cndmask_b32_e64 v4, 0, 1, vcc
	v_or_b32_e32 v4, v8, v4
	v_cmp_gt_i32_e32 vcc, 1, v6
	v_lshrrev_b32_e32 v1, 16, v1
	s_nop 0
	v_cndmask_b32_e32 v4, v7, v4, vcc
	v_and_b32_e32 v7, 7, v4
	v_cmp_lt_i32_e32 vcc, 5, v7
	v_cmp_eq_u32_e64 s[0:1], 3, v7
	v_lshrrev_b32_e32 v4, 2, v4
	s_or_b64 vcc, s[0:1], vcc
	v_addc_co_u32_e32 v4, vcc, 0, v4, vcc
	v_cmp_gt_i32_e32 vcc, 31, v6
	s_nop 1
	v_cndmask_b32_e32 v4, v14, v4, vcc
	v_cmp_ne_u32_e32 vcc, 0, v0
	s_nop 1
	v_cndmask_b32_e64 v0, 0, 1, vcc
	v_lshl_or_b32 v0, v0, 9, v14
	v_cmp_eq_u32_e32 vcc, s8, v6
	v_mad_u64_u32 v[6:7], s[0:1], s4, v80, 0
	s_nop 0
	v_cndmask_b32_e32 v0, v4, v0, vcc
	v_and_or_b32 v12, v1, s10, v0
	ds_read2_b32 v[0:1], v136 offset0:116 offset1:241
	v_mov_b32_e32 v4, v7
	v_mad_u64_u32 v[8:9], s[0:1], s5, v80, v[4:5]
	v_mov_b32_e32 v7, v8
	s_waitcnt lgkmcnt(0)
	v_lshrrev_b32_e32 v8, 16, v1
	v_mul_f16_sdwa v9, v130, v8 dst_sel:DWORD dst_unused:UNUSED_PAD src0_sel:WORD_1 src1_sel:DWORD
	v_fma_f16 v9, v130, v1, v9
	v_cvt_f32_f16_e32 v9, v9
	v_bitop3_b32 v4, v11, s9, v10 bitop3:0xc8
	v_lshl_add_u64 v[2:3], v[6:7], 2, v[2:3]
	v_lshl_or_b32 v4, v12, 16, v4
	v_cvt_f64_f32_e32 v[6:7], v9
	v_mul_f64 v[6:7], v[6:7], s[2:3]
	global_store_dword v[2:3], v4, off
	v_and_or_b32 v4, v7, s6, v6
	v_cmp_ne_u32_e32 vcc, 0, v4
	v_lshrrev_b32_e32 v6, 8, v7
	v_bfe_u32 v9, v7, 20, 11
	v_cndmask_b32_e64 v4, 0, 1, vcc
	v_and_or_b32 v4, v6, s7, v4
	v_sub_u32_e32 v10, 0x3f1, v9
	v_or_b32_e32 v6, 0x1000, v4
	v_med3_i32 v10, v10, 0, 13
	v_lshrrev_b32_e32 v11, v10, v6
	v_lshlrev_b32_e32 v10, v10, v11
	v_cmp_ne_u32_e32 vcc, v10, v6
	v_add_u32_e32 v9, 0xfffffc10, v9
	v_lshl_or_b32 v10, v9, 12, v4
	v_cndmask_b32_e64 v6, 0, 1, vcc
	v_or_b32_e32 v6, v11, v6
	v_cmp_gt_i32_e32 vcc, 1, v9
	v_mul_f16_sdwa v1, v130, v1 dst_sel:DWORD dst_unused:UNUSED_PAD src0_sel:WORD_1 src1_sel:DWORD
	v_fma_f16 v1, v130, v8, -v1
	v_cndmask_b32_e32 v6, v10, v6, vcc
	v_and_b32_e32 v10, 7, v6
	v_cmp_lt_i32_e32 vcc, 5, v10
	v_cmp_eq_u32_e64 s[0:1], 3, v10
	v_lshrrev_b32_e32 v6, 2, v6
	s_or_b64 vcc, s[0:1], vcc
	v_addc_co_u32_e32 v6, vcc, 0, v6, vcc
	v_cmp_gt_i32_e32 vcc, 31, v9
	v_cvt_f32_f16_e32 v1, v1
	v_and_b32_sdwa v8, v7, s10 dst_sel:DWORD dst_unused:UNUSED_PAD src0_sel:WORD_1 src1_sel:DWORD
	v_cndmask_b32_e32 v6, v14, v6, vcc
	v_cmp_ne_u32_e32 vcc, 0, v4
	s_nop 1
	v_cndmask_b32_e64 v4, 0, 1, vcc
	v_lshl_or_b32 v4, v4, 9, v14
	v_cmp_eq_u32_e32 vcc, s8, v9
	s_nop 1
	v_cndmask_b32_e32 v4, v6, v4, vcc
	v_cvt_f64_f32_e32 v[6:7], v1
	v_mul_f64 v[6:7], v[6:7], s[2:3]
	v_and_or_b32 v1, v7, s6, v6
	v_cmp_ne_u32_e32 vcc, 0, v1
	v_lshrrev_b32_e32 v6, 8, v7
	v_bfe_u32 v9, v7, 20, 11
	v_cndmask_b32_e64 v1, 0, 1, vcc
	v_and_or_b32 v1, v6, s7, v1
	v_sub_u32_e32 v10, 0x3f1, v9
	v_or_b32_e32 v6, 0x1000, v1
	v_med3_i32 v10, v10, 0, 13
	v_lshrrev_b32_e32 v11, v10, v6
	v_lshlrev_b32_e32 v10, v10, v11
	v_cmp_ne_u32_e32 vcc, v10, v6
	v_add_u32_e32 v9, 0xfffffc10, v9
	v_lshl_or_b32 v10, v9, 12, v1
	v_cndmask_b32_e64 v6, 0, 1, vcc
	v_or_b32_e32 v6, v11, v6
	v_cmp_gt_i32_e32 vcc, 1, v9
	v_bitop3_b32 v4, v8, s9, v4 bitop3:0xc8
	s_nop 0
	v_cndmask_b32_e32 v6, v10, v6, vcc
	v_and_b32_e32 v10, 7, v6
	v_cmp_lt_i32_e32 vcc, 5, v10
	v_cmp_eq_u32_e64 s[0:1], 3, v10
	v_lshrrev_b32_e32 v6, 2, v6
	s_or_b64 vcc, s[0:1], vcc
	v_addc_co_u32_e32 v6, vcc, 0, v6, vcc
	v_cmp_gt_i32_e32 vcc, 31, v9
	s_nop 1
	v_cndmask_b32_e32 v6, v14, v6, vcc
	v_cmp_ne_u32_e32 vcc, 0, v1
	s_nop 1
	v_cndmask_b32_e64 v1, 0, 1, vcc
	v_lshl_or_b32 v1, v1, 9, v14
	v_cmp_eq_u32_e32 vcc, s8, v9
	v_mad_u64_u32 v[8:9], s[0:1], s4, v83, v[2:3]
	s_nop 0
	v_cndmask_b32_e32 v1, v6, v1, vcc
	v_lshrrev_b32_e32 v6, 16, v7
	v_and_or_b32 v1, v6, s10, v1
	ds_read2_b32 v[6:7], v135 offset0:98 offset1:223
	v_lshl_or_b32 v1, v1, 16, v4
	v_add_u32_e32 v9, s11, v9
	global_store_dword v[8:9], v1, off
	s_waitcnt lgkmcnt(0)
	v_lshrrev_b32_e32 v4, 16, v6
	v_mul_f16_sdwa v2, v128, v4 dst_sel:DWORD dst_unused:UNUSED_PAD src0_sel:WORD_1 src1_sel:DWORD
	v_fma_f16 v2, v128, v6, v2
	v_cvt_f32_f16_e32 v2, v2
	v_mul_f16_sdwa v6, v128, v6 dst_sel:DWORD dst_unused:UNUSED_PAD src0_sel:WORD_1 src1_sel:DWORD
	v_fma_f16 v4, v128, v4, -v6
	v_cvt_f32_f16_e32 v4, v4
	v_cvt_f64_f32_e32 v[2:3], v2
	v_mul_f64 v[2:3], v[2:3], s[2:3]
	v_and_or_b32 v1, v3, s6, v2
	v_cmp_ne_u32_e32 vcc, 0, v1
	v_lshrrev_b32_e32 v2, 8, v3
	v_bfe_u32 v10, v3, 20, 11
	v_cndmask_b32_e64 v1, 0, 1, vcc
	v_and_or_b32 v1, v2, s7, v1
	v_sub_u32_e32 v11, 0x3f1, v10
	v_or_b32_e32 v2, 0x1000, v1
	v_med3_i32 v11, v11, 0, 13
	v_lshrrev_b32_e32 v12, v11, v2
	v_lshlrev_b32_e32 v11, v11, v12
	v_cmp_ne_u32_e32 vcc, v11, v2
	v_add_u32_e32 v10, 0xfffffc10, v10
	v_lshl_or_b32 v11, v10, 12, v1
	v_cndmask_b32_e64 v2, 0, 1, vcc
	v_or_b32_e32 v2, v12, v2
	v_cmp_gt_i32_e32 vcc, 1, v10
	v_and_b32_sdwa v6, v3, s10 dst_sel:DWORD dst_unused:UNUSED_PAD src0_sel:WORD_1 src1_sel:DWORD
	s_nop 0
	v_cndmask_b32_e32 v2, v11, v2, vcc
	v_and_b32_e32 v11, 7, v2
	v_cmp_lt_i32_e32 vcc, 5, v11
	v_cmp_eq_u32_e64 s[0:1], 3, v11
	v_lshrrev_b32_e32 v2, 2, v2
	s_or_b64 vcc, s[0:1], vcc
	v_addc_co_u32_e32 v2, vcc, 0, v2, vcc
	v_cmp_gt_i32_e32 vcc, 31, v10
	s_nop 1
	v_cndmask_b32_e32 v2, v14, v2, vcc
	v_cmp_ne_u32_e32 vcc, 0, v1
	s_nop 1
	v_cndmask_b32_e64 v1, 0, 1, vcc
	v_lshl_or_b32 v1, v1, 9, v14
	v_cmp_eq_u32_e32 vcc, s8, v10
	s_nop 1
	v_cndmask_b32_e32 v1, v2, v1, vcc
	v_cvt_f64_f32_e32 v[2:3], v4
	v_mul_f64 v[10:11], v[2:3], s[2:3]
	v_and_or_b32 v2, v11, s6, v10
	v_cmp_ne_u32_e32 vcc, 0, v2
	v_lshrrev_b32_e32 v3, 8, v11
	v_bfe_u32 v4, v11, 20, 11
	v_cndmask_b32_e64 v2, 0, 1, vcc
	v_and_or_b32 v2, v3, s7, v2
	v_sub_u32_e32 v10, 0x3f1, v4
	v_or_b32_e32 v3, 0x1000, v2
	v_med3_i32 v10, v10, 0, 13
	v_lshrrev_b32_e32 v12, v10, v3
	v_lshlrev_b32_e32 v10, v10, v12
	v_cmp_ne_u32_e32 vcc, v10, v3
	v_add_u32_e32 v4, 0xfffffc10, v4
	v_lshl_or_b32 v10, v4, 12, v2
	v_cndmask_b32_e64 v3, 0, 1, vcc
	v_or_b32_e32 v3, v12, v3
	v_cmp_gt_i32_e32 vcc, 1, v4
	v_bitop3_b32 v1, v6, s9, v1 bitop3:0xc8
	s_nop 0
	v_cndmask_b32_e32 v3, v10, v3, vcc
	v_and_b32_e32 v10, 7, v3
	v_cmp_lt_i32_e32 vcc, 5, v10
	v_cmp_eq_u32_e64 s[0:1], 3, v10
	v_lshrrev_b32_e32 v3, 2, v3
	s_or_b64 vcc, s[0:1], vcc
	v_addc_co_u32_e32 v3, vcc, 0, v3, vcc
	v_cmp_gt_i32_e32 vcc, 31, v4
	v_lshrrev_b32_e32 v10, 16, v11
	s_nop 0
	v_cndmask_b32_e32 v3, v14, v3, vcc
	v_cmp_ne_u32_e32 vcc, 0, v2
	s_nop 1
	v_cndmask_b32_e64 v2, 0, 1, vcc
	v_lshl_or_b32 v2, v2, 9, v14
	v_cmp_eq_u32_e32 vcc, s8, v4
	s_nop 1
	v_cndmask_b32_e32 v4, v3, v2, vcc
	ds_read2_b32 v[2:3], v134 offset0:86 offset1:211
	v_and_or_b32 v4, v10, s10, v4
	v_lshl_or_b32 v1, v4, 16, v1
	v_mad_u64_u32 v[10:11], s[0:1], s4, v83, v[8:9]
	s_waitcnt lgkmcnt(0)
	v_lshrrev_b32_e32 v4, 16, v3
	v_mul_f16_sdwa v6, v126, v4 dst_sel:DWORD dst_unused:UNUSED_PAD src0_sel:WORD_1 src1_sel:DWORD
	v_fma_f16 v6, v126, v3, v6
	v_cvt_f32_f16_e32 v6, v6
	v_add_u32_e32 v11, s11, v11
	global_store_dword v[10:11], v1, off
	v_mul_f16_sdwa v3, v126, v3 dst_sel:DWORD dst_unused:UNUSED_PAD src0_sel:WORD_1 src1_sel:DWORD
	v_cvt_f64_f32_e32 v[8:9], v6
	v_mul_f64 v[8:9], v[8:9], s[2:3]
	v_and_or_b32 v1, v9, s6, v8
	v_cmp_ne_u32_e32 vcc, 0, v1
	v_lshrrev_b32_e32 v6, 8, v9
	v_bfe_u32 v8, v9, 20, 11
	v_cndmask_b32_e64 v1, 0, 1, vcc
	v_and_or_b32 v1, v6, s7, v1
	v_sub_u32_e32 v12, 0x3f1, v8
	v_or_b32_e32 v6, 0x1000, v1
	v_med3_i32 v12, v12, 0, 13
	v_lshrrev_b32_e32 v13, v12, v6
	v_lshlrev_b32_e32 v12, v12, v13
	v_cmp_ne_u32_e32 vcc, v12, v6
	v_add_u32_e32 v8, 0xfffffc10, v8
	v_lshl_or_b32 v12, v8, 12, v1
	v_cndmask_b32_e64 v6, 0, 1, vcc
	v_or_b32_e32 v6, v13, v6
	v_cmp_gt_i32_e32 vcc, 1, v8
	v_fma_f16 v3, v126, v4, -v3
	v_cvt_f32_f16_e32 v3, v3
	v_cndmask_b32_e32 v6, v12, v6, vcc
	v_and_b32_e32 v12, 7, v6
	v_cmp_lt_i32_e32 vcc, 5, v12
	v_cmp_eq_u32_e64 s[0:1], 3, v12
	v_lshrrev_b32_e32 v6, 2, v6
	s_or_b64 vcc, s[0:1], vcc
	v_addc_co_u32_e32 v6, vcc, 0, v6, vcc
	v_cmp_gt_i32_e32 vcc, 31, v8
	v_and_b32_sdwa v4, v9, s10 dst_sel:DWORD dst_unused:UNUSED_PAD src0_sel:WORD_1 src1_sel:DWORD
	s_nop 0
	v_cndmask_b32_e32 v6, v14, v6, vcc
	v_cmp_ne_u32_e32 vcc, 0, v1
	s_nop 1
	v_cndmask_b32_e64 v1, 0, 1, vcc
	v_cmp_eq_u32_e32 vcc, s8, v8
	v_cvt_f64_f32_e32 v[8:9], v3
	v_mul_f64 v[12:13], v[8:9], s[2:3]
	v_lshl_or_b32 v1, v1, 9, v14
	v_and_or_b32 v3, v13, s6, v12
	v_cndmask_b32_e32 v1, v6, v1, vcc
	v_cmp_ne_u32_e32 vcc, 0, v3
	v_lshrrev_b32_e32 v6, 8, v13
	v_bfe_u32 v8, v13, 20, 11
	v_cndmask_b32_e64 v3, 0, 1, vcc
	v_and_or_b32 v3, v6, s7, v3
	v_sub_u32_e32 v9, 0x3f1, v8
	v_or_b32_e32 v6, 0x1000, v3
	v_med3_i32 v9, v9, 0, 13
	v_lshrrev_b32_e32 v12, v9, v6
	v_lshlrev_b32_e32 v9, v9, v12
	v_cmp_ne_u32_e32 vcc, v9, v6
	v_add_u32_e32 v8, 0xfffffc10, v8
	v_lshl_or_b32 v9, v8, 12, v3
	v_cndmask_b32_e64 v6, 0, 1, vcc
	v_or_b32_e32 v6, v12, v6
	v_cmp_gt_i32_e32 vcc, 1, v8
	v_bitop3_b32 v1, v4, s9, v1 bitop3:0xc8
	s_nop 0
	v_cndmask_b32_e32 v6, v9, v6, vcc
	v_and_b32_e32 v9, 7, v6
	v_cmp_lt_i32_e32 vcc, 5, v9
	v_cmp_eq_u32_e64 s[0:1], 3, v9
	v_lshrrev_b32_e32 v6, 2, v6
	s_or_b64 vcc, s[0:1], vcc
	v_addc_co_u32_e32 v6, vcc, 0, v6, vcc
	v_cmp_gt_i32_e32 vcc, 31, v8
	v_mad_u64_u32 v[10:11], s[0:1], s4, v83, v[10:11]
	s_nop 0
	v_cndmask_b32_e32 v6, v14, v6, vcc
	v_cmp_ne_u32_e32 vcc, 0, v3
	v_add_u32_e32 v11, s11, v11
	s_nop 0
	v_cndmask_b32_e64 v3, 0, 1, vcc
	v_cmp_eq_u32_e32 vcc, s8, v8
	ds_read2_b32 v[8:9], v133 offset0:68 offset1:193
	v_lshl_or_b32 v3, v3, 9, v14
	v_cndmask_b32_e32 v3, v6, v3, vcc
	v_lshrrev_b32_e32 v6, 16, v13
	v_and_or_b32 v3, v6, s10, v3
	v_lshl_or_b32 v1, v3, 16, v1
	s_waitcnt lgkmcnt(0)
	v_lshrrev_b32_e32 v3, 16, v8
	v_mul_f16_sdwa v4, v125, v3 dst_sel:DWORD dst_unused:UNUSED_PAD src0_sel:WORD_1 src1_sel:DWORD
	v_fma_f16 v4, v125, v8, v4
	v_cvt_f32_f16_e32 v4, v4
	global_store_dword v[10:11], v1, off
	v_mul_f16_sdwa v8, v125, v8 dst_sel:DWORD dst_unused:UNUSED_PAD src0_sel:WORD_1 src1_sel:DWORD
	v_fma_f16 v3, v125, v3, -v8
	v_cvt_f64_f32_e32 v[12:13], v4
	v_mul_f64 v[12:13], v[12:13], s[2:3]
	v_and_or_b32 v1, v13, s6, v12
	v_cmp_ne_u32_e32 vcc, 0, v1
	v_lshrrev_b32_e32 v4, 8, v13
	v_bfe_u32 v6, v13, 20, 11
	v_cndmask_b32_e64 v1, 0, 1, vcc
	v_and_or_b32 v1, v4, s7, v1
	v_sub_u32_e32 v12, 0x3f1, v6
	v_or_b32_e32 v4, 0x1000, v1
	v_med3_i32 v12, v12, 0, 13
	v_lshrrev_b32_e32 v15, v12, v4
	v_lshlrev_b32_e32 v12, v12, v15
	v_cmp_ne_u32_e32 vcc, v12, v4
	v_add_u32_e32 v6, 0xfffffc10, v6
	v_lshl_or_b32 v12, v6, 12, v1
	v_cndmask_b32_e64 v4, 0, 1, vcc
	v_or_b32_e32 v4, v15, v4
	v_cmp_gt_i32_e32 vcc, 1, v6
	v_cvt_f32_f16_e32 v3, v3
	s_nop 0
	v_cndmask_b32_e32 v4, v12, v4, vcc
	v_and_b32_e32 v12, 7, v4
	v_cmp_lt_i32_e32 vcc, 5, v12
	v_cmp_eq_u32_e64 s[0:1], 3, v12
	v_lshrrev_b32_e32 v4, 2, v4
	s_or_b64 vcc, s[0:1], vcc
	v_addc_co_u32_e32 v4, vcc, 0, v4, vcc
	v_cmp_gt_i32_e32 vcc, 31, v6
	s_nop 1
	v_cndmask_b32_e32 v4, v14, v4, vcc
	v_cmp_ne_u32_e32 vcc, 0, v1
	s_nop 1
	v_cndmask_b32_e64 v1, 0, 1, vcc
	v_lshl_or_b32 v1, v1, 9, v14
	v_cmp_eq_u32_e32 vcc, s8, v6
	s_nop 1
	v_cndmask_b32_e32 v1, v4, v1, vcc
	v_and_b32_sdwa v4, v13, s10 dst_sel:DWORD dst_unused:UNUSED_PAD src0_sel:WORD_1 src1_sel:DWORD
	v_cvt_f64_f32_e32 v[12:13], v3
	v_mul_f64 v[12:13], v[12:13], s[2:3]
	v_and_or_b32 v3, v13, s6, v12
	v_cmp_ne_u32_e32 vcc, 0, v3
	v_lshrrev_b32_e32 v6, 8, v13
	v_bfe_u32 v8, v13, 20, 11
	v_cndmask_b32_e64 v3, 0, 1, vcc
	v_and_or_b32 v3, v6, s7, v3
	v_sub_u32_e32 v12, 0x3f1, v8
	v_or_b32_e32 v6, 0x1000, v3
	v_med3_i32 v12, v12, 0, 13
	v_lshrrev_b32_e32 v15, v12, v6
	v_lshlrev_b32_e32 v12, v12, v15
	v_cmp_ne_u32_e32 vcc, v12, v6
	v_add_u32_e32 v8, 0xfffffc10, v8
	v_lshl_or_b32 v12, v8, 12, v3
	v_cndmask_b32_e64 v6, 0, 1, vcc
	v_or_b32_e32 v6, v15, v6
	v_cmp_gt_i32_e32 vcc, 1, v8
	v_bitop3_b32 v1, v4, s9, v1 bitop3:0xc8
	s_nop 0
	v_cndmask_b32_e32 v6, v12, v6, vcc
	v_and_b32_e32 v12, 7, v6
	v_cmp_lt_i32_e32 vcc, 5, v12
	v_cmp_eq_u32_e64 s[0:1], 3, v12
	v_lshrrev_b32_e32 v6, 2, v6
	s_or_b64 vcc, s[0:1], vcc
	v_addc_co_u32_e32 v6, vcc, 0, v6, vcc
	v_cmp_gt_i32_e32 vcc, 31, v8
	v_mad_u64_u32 v[10:11], s[0:1], s4, v83, v[10:11]
	s_nop 0
	v_cndmask_b32_e32 v6, v14, v6, vcc
	v_cmp_ne_u32_e32 vcc, 0, v3
	v_add_u32_e32 v11, s11, v11
	s_nop 0
	v_cndmask_b32_e64 v3, 0, 1, vcc
	v_lshl_or_b32 v3, v3, 9, v14
	v_cmp_eq_u32_e32 vcc, s8, v8
	s_nop 1
	v_cndmask_b32_e32 v3, v6, v3, vcc
	v_lshrrev_b32_e32 v6, 16, v13
	v_and_or_b32 v3, v6, s10, v3
	v_lshl_or_b32 v1, v3, 16, v1
	v_lshrrev_b32_e32 v3, 16, v5
	v_mul_f16_sdwa v4, v121, v3 dst_sel:DWORD dst_unused:UNUSED_PAD src0_sel:WORD_1 src1_sel:DWORD
	v_fma_f16 v4, v121, v5, v4
	v_cvt_f32_f16_e32 v4, v4
	global_store_dword v[10:11], v1, off
	v_mul_f16_sdwa v5, v121, v5 dst_sel:DWORD dst_unused:UNUSED_PAD src0_sel:WORD_1 src1_sel:DWORD
	v_fma_f16 v3, v121, v3, -v5
	v_cvt_f64_f32_e32 v[12:13], v4
	v_mul_f64 v[12:13], v[12:13], s[2:3]
	v_and_or_b32 v1, v13, s6, v12
	v_cmp_ne_u32_e32 vcc, 0, v1
	v_lshrrev_b32_e32 v4, 8, v13
	v_bfe_u32 v6, v13, 20, 11
	v_cndmask_b32_e64 v1, 0, 1, vcc
	v_and_or_b32 v1, v4, s7, v1
	v_sub_u32_e32 v8, 0x3f1, v6
	v_or_b32_e32 v4, 0x1000, v1
	v_med3_i32 v8, v8, 0, 13
	v_lshrrev_b32_e32 v12, v8, v4
	v_lshlrev_b32_e32 v8, v8, v12
	v_cmp_ne_u32_e32 vcc, v8, v4
	v_add_u32_e32 v6, 0xfffffc10, v6
	v_lshl_or_b32 v8, v6, 12, v1
	v_cndmask_b32_e64 v4, 0, 1, vcc
	v_or_b32_e32 v4, v12, v4
	v_cmp_gt_i32_e32 vcc, 1, v6
	v_cvt_f32_f16_e32 v3, v3
	s_nop 0
	v_cndmask_b32_e32 v4, v8, v4, vcc
	v_and_b32_e32 v8, 7, v4
	v_cmp_lt_i32_e32 vcc, 5, v8
	v_cmp_eq_u32_e64 s[0:1], 3, v8
	v_lshrrev_b32_e32 v4, 2, v4
	s_or_b64 vcc, s[0:1], vcc
	v_addc_co_u32_e32 v4, vcc, 0, v4, vcc
	v_cmp_gt_i32_e32 vcc, 31, v6
	s_nop 1
	v_cndmask_b32_e32 v4, v14, v4, vcc
	v_cmp_ne_u32_e32 vcc, 0, v1
	s_nop 1
	v_cndmask_b32_e64 v1, 0, 1, vcc
	v_lshl_or_b32 v1, v1, 9, v14
	v_cmp_eq_u32_e32 vcc, s8, v6
	v_and_b32_sdwa v6, v13, s10 dst_sel:DWORD dst_unused:UNUSED_PAD src0_sel:WORD_1 src1_sel:DWORD
	s_nop 0
	v_cndmask_b32_e32 v1, v4, v1, vcc
	v_cvt_f64_f32_e32 v[4:5], v3
	v_mul_f64 v[4:5], v[4:5], s[2:3]
	v_and_or_b32 v3, v5, s6, v4
	v_cmp_ne_u32_e32 vcc, 0, v3
	v_lshrrev_b32_e32 v4, 8, v5
	v_bfe_u32 v8, v5, 20, 11
	v_cndmask_b32_e64 v3, 0, 1, vcc
	v_and_or_b32 v3, v4, s7, v3
	v_sub_u32_e32 v12, 0x3f1, v8
	v_or_b32_e32 v4, 0x1000, v3
	v_med3_i32 v12, v12, 0, 13
	v_lshrrev_b32_e32 v13, v12, v4
	v_lshlrev_b32_e32 v12, v12, v13
	v_cmp_ne_u32_e32 vcc, v12, v4
	v_add_u32_e32 v8, 0xfffffc10, v8
	v_lshl_or_b32 v12, v8, 12, v3
	v_cndmask_b32_e64 v4, 0, 1, vcc
	v_or_b32_e32 v4, v13, v4
	v_cmp_gt_i32_e32 vcc, 1, v8
	v_bitop3_b32 v1, v6, s9, v1 bitop3:0xc8
	s_nop 0
	v_cndmask_b32_e32 v4, v12, v4, vcc
	v_and_b32_e32 v12, 7, v4
	v_cmp_lt_i32_e32 vcc, 5, v12
	v_cmp_eq_u32_e64 s[0:1], 3, v12
	v_lshrrev_b32_e32 v4, 2, v4
	s_or_b64 vcc, s[0:1], vcc
	v_addc_co_u32_e32 v4, vcc, 0, v4, vcc
	v_cmp_gt_i32_e32 vcc, 31, v8
	ds_read2_b32 v[12:13], v131 offset0:110 offset1:235
	s_nop 0
	v_cndmask_b32_e32 v4, v14, v4, vcc
	v_cmp_ne_u32_e32 vcc, 0, v3
	s_nop 1
	v_cndmask_b32_e64 v3, 0, 1, vcc
	v_lshl_or_b32 v3, v3, 9, v14
	v_cmp_eq_u32_e32 vcc, s8, v8
	s_nop 1
	v_cndmask_b32_e32 v3, v4, v3, vcc
	v_lshrrev_b32_e32 v4, 16, v5
	v_and_or_b32 v3, v4, s10, v3
	v_lshl_or_b32 v1, v3, 16, v1
	s_waitcnt lgkmcnt(0)
	v_lshrrev_b32_e32 v3, 16, v12
	v_mul_f16_sdwa v6, v119, v3 dst_sel:DWORD dst_unused:UNUSED_PAD src0_sel:WORD_1 src1_sel:DWORD
	v_fma_f16 v6, v119, v12, v6
	v_cvt_f32_f16_e32 v6, v6
	v_mad_u64_u32 v[4:5], s[0:1], s4, v100, v[10:11]
	s_mul_i32 s0, s5, 0xffffdae4
	s_sub_i32 s5, s0, s4
	v_cvt_f64_f32_e32 v[10:11], v6
	v_add_u32_e32 v5, s5, v5
	v_mul_f64 v[10:11], v[10:11], s[2:3]
	global_store_dword v[4:5], v1, off
	v_and_or_b32 v1, v11, s6, v10
	v_cmp_ne_u32_e32 vcc, 0, v1
	v_lshrrev_b32_e32 v6, 8, v11
	v_bfe_u32 v8, v11, 20, 11
	v_cndmask_b32_e64 v1, 0, 1, vcc
	v_and_or_b32 v1, v6, s7, v1
	v_sub_u32_e32 v10, 0x3f1, v8
	v_or_b32_e32 v6, 0x1000, v1
	v_med3_i32 v10, v10, 0, 13
	v_lshrrev_b32_e32 v15, v10, v6
	v_lshlrev_b32_e32 v10, v10, v15
	v_cmp_ne_u32_e32 vcc, v10, v6
	v_add_u32_e32 v8, 0xfffffc10, v8
	v_lshl_or_b32 v10, v8, 12, v1
	v_cndmask_b32_e64 v6, 0, 1, vcc
	v_or_b32_e32 v6, v15, v6
	v_cmp_gt_i32_e32 vcc, 1, v8
	s_nop 1
	v_cndmask_b32_e32 v6, v10, v6, vcc
	v_and_b32_e32 v10, 7, v6
	v_cmp_lt_i32_e32 vcc, 5, v10
	v_cmp_eq_u32_e64 s[0:1], 3, v10
	v_lshrrev_b32_e32 v6, 2, v6
	s_or_b64 vcc, s[0:1], vcc
	v_mul_f16_sdwa v10, v119, v12 dst_sel:DWORD dst_unused:UNUSED_PAD src0_sel:WORD_1 src1_sel:DWORD
	v_addc_co_u32_e32 v6, vcc, 0, v6, vcc
	v_fma_f16 v3, v119, v3, -v10
	v_cmp_gt_i32_e32 vcc, 31, v8
	v_cvt_f32_f16_e32 v3, v3
	s_nop 0
	v_cndmask_b32_e32 v6, v14, v6, vcc
	v_cmp_ne_u32_e32 vcc, 0, v1
	s_nop 1
	v_cndmask_b32_e64 v1, 0, 1, vcc
	v_lshl_or_b32 v1, v1, 9, v14
	v_cmp_eq_u32_e32 vcc, s8, v8
	s_nop 1
	v_cndmask_b32_e32 v1, v6, v1, vcc
	v_and_b32_sdwa v6, v11, s10 dst_sel:DWORD dst_unused:UNUSED_PAD src0_sel:WORD_1 src1_sel:DWORD
	v_cvt_f64_f32_e32 v[10:11], v3
	v_mul_f64 v[10:11], v[10:11], s[2:3]
	v_and_or_b32 v3, v11, s6, v10
	v_cmp_ne_u32_e32 vcc, 0, v3
	v_lshrrev_b32_e32 v8, 8, v11
	v_bfe_u32 v10, v11, 20, 11
	v_cndmask_b32_e64 v3, 0, 1, vcc
	v_and_or_b32 v3, v8, s7, v3
	v_sub_u32_e32 v12, 0x3f1, v10
	v_or_b32_e32 v8, 0x1000, v3
	v_med3_i32 v12, v12, 0, 13
	v_lshrrev_b32_e32 v15, v12, v8
	v_lshlrev_b32_e32 v12, v12, v15
	v_cmp_ne_u32_e32 vcc, v12, v8
	v_add_u32_e32 v10, 0xfffffc10, v10
	v_lshl_or_b32 v12, v10, 12, v3
	v_cndmask_b32_e64 v8, 0, 1, vcc
	v_or_b32_e32 v8, v15, v8
	v_cmp_gt_i32_e32 vcc, 1, v10
	v_bitop3_b32 v1, v6, s9, v1 bitop3:0xc8
	s_nop 0
	v_cndmask_b32_e32 v8, v12, v8, vcc
	v_and_b32_e32 v12, 7, v8
	v_cmp_lt_i32_e32 vcc, 5, v12
	v_cmp_eq_u32_e64 s[0:1], 3, v12
	v_lshrrev_b32_e32 v8, 2, v8
	s_or_b64 vcc, s[0:1], vcc
	v_addc_co_u32_e32 v8, vcc, 0, v8, vcc
	v_cmp_gt_i32_e32 vcc, 31, v10
	v_mad_u64_u32 v[4:5], s[0:1], s4, v83, v[4:5]
	s_nop 0
	v_cndmask_b32_e32 v8, v14, v8, vcc
	v_cmp_ne_u32_e32 vcc, 0, v3
	v_add_u32_e32 v5, s11, v5
	s_nop 0
	v_cndmask_b32_e64 v3, 0, 1, vcc
	v_lshl_or_b32 v3, v3, 9, v14
	v_cmp_eq_u32_e32 vcc, s8, v10
	s_nop 1
	v_cndmask_b32_e32 v3, v8, v3, vcc
	v_lshrrev_b32_e32 v8, 16, v11
	v_and_or_b32 v3, v8, s10, v3
	v_lshl_or_b32 v1, v3, 16, v1
	v_lshrrev_b32_e32 v3, 16, v7
	v_mul_f16_sdwa v6, v123, v3 dst_sel:DWORD dst_unused:UNUSED_PAD src0_sel:WORD_1 src1_sel:DWORD
	v_fma_f16 v6, v123, v7, v6
	v_cvt_f32_f16_e32 v6, v6
	global_store_dword v[4:5], v1, off
	v_mul_f16_sdwa v7, v123, v7 dst_sel:DWORD dst_unused:UNUSED_PAD src0_sel:WORD_1 src1_sel:DWORD
	v_fma_f16 v3, v123, v3, -v7
	v_cvt_f64_f32_e32 v[10:11], v6
	v_mul_f64 v[10:11], v[10:11], s[2:3]
	v_and_or_b32 v1, v11, s6, v10
	v_cmp_ne_u32_e32 vcc, 0, v1
	v_lshrrev_b32_e32 v6, 8, v11
	v_bfe_u32 v8, v11, 20, 11
	v_cndmask_b32_e64 v1, 0, 1, vcc
	v_and_or_b32 v1, v6, s7, v1
	v_sub_u32_e32 v10, 0x3f1, v8
	v_or_b32_e32 v6, 0x1000, v1
	v_med3_i32 v10, v10, 0, 13
	v_lshrrev_b32_e32 v12, v10, v6
	v_lshlrev_b32_e32 v10, v10, v12
	v_cmp_ne_u32_e32 vcc, v10, v6
	v_add_u32_e32 v8, 0xfffffc10, v8
	v_lshl_or_b32 v10, v8, 12, v1
	v_cndmask_b32_e64 v6, 0, 1, vcc
	v_or_b32_e32 v6, v12, v6
	v_cmp_gt_i32_e32 vcc, 1, v8
	v_cvt_f32_f16_e32 v3, v3
	s_nop 0
	v_cndmask_b32_e32 v6, v10, v6, vcc
	v_and_b32_e32 v10, 7, v6
	v_cmp_lt_i32_e32 vcc, 5, v10
	v_cmp_eq_u32_e64 s[0:1], 3, v10
	v_lshrrev_b32_e32 v6, 2, v6
	s_or_b64 vcc, s[0:1], vcc
	v_addc_co_u32_e32 v6, vcc, 0, v6, vcc
	v_cmp_gt_i32_e32 vcc, 31, v8
	s_nop 1
	v_cndmask_b32_e32 v6, v14, v6, vcc
	v_cmp_ne_u32_e32 vcc, 0, v1
	s_nop 1
	v_cndmask_b32_e64 v1, 0, 1, vcc
	v_lshl_or_b32 v1, v1, 9, v14
	v_cmp_eq_u32_e32 vcc, s8, v8
	v_and_b32_sdwa v8, v11, s10 dst_sel:DWORD dst_unused:UNUSED_PAD src0_sel:WORD_1 src1_sel:DWORD
	s_nop 0
	v_cndmask_b32_e32 v1, v6, v1, vcc
	v_cvt_f64_f32_e32 v[6:7], v3
	v_mul_f64 v[6:7], v[6:7], s[2:3]
	v_and_or_b32 v3, v7, s6, v6
	v_cmp_ne_u32_e32 vcc, 0, v3
	v_lshrrev_b32_e32 v6, 8, v7
	v_bfe_u32 v10, v7, 20, 11
	v_cndmask_b32_e64 v3, 0, 1, vcc
	v_and_or_b32 v3, v6, s7, v3
	v_sub_u32_e32 v11, 0x3f1, v10
	v_or_b32_e32 v6, 0x1000, v3
	v_med3_i32 v11, v11, 0, 13
	v_lshrrev_b32_e32 v12, v11, v6
	v_lshlrev_b32_e32 v11, v11, v12
	v_cmp_ne_u32_e32 vcc, v11, v6
	v_add_u32_e32 v10, 0xfffffc10, v10
	v_lshl_or_b32 v11, v10, 12, v3
	v_cndmask_b32_e64 v6, 0, 1, vcc
	v_or_b32_e32 v6, v12, v6
	v_cmp_gt_i32_e32 vcc, 1, v10
	v_bitop3_b32 v1, v8, s9, v1 bitop3:0xc8
	s_nop 0
	v_cndmask_b32_e32 v6, v11, v6, vcc
	v_and_b32_e32 v11, 7, v6
	v_cmp_lt_i32_e32 vcc, 5, v11
	v_cmp_eq_u32_e64 s[0:1], 3, v11
	v_lshrrev_b32_e32 v6, 2, v6
	s_or_b64 vcc, s[0:1], vcc
	v_addc_co_u32_e32 v6, vcc, 0, v6, vcc
	v_cmp_gt_i32_e32 vcc, 31, v10
	v_mad_u64_u32 v[4:5], s[0:1], s4, v83, v[4:5]
	s_nop 0
	v_cndmask_b32_e32 v6, v14, v6, vcc
	v_cmp_ne_u32_e32 vcc, 0, v3
	v_add_u32_e32 v5, s11, v5
	s_nop 0
	v_cndmask_b32_e64 v3, 0, 1, vcc
	v_cmp_eq_u32_e32 vcc, s8, v10
	ds_read2_b32 v[10:11], v127 offset0:80 offset1:205
	v_lshl_or_b32 v3, v3, 9, v14
	v_cndmask_b32_e32 v3, v6, v3, vcc
	v_lshrrev_b32_e32 v6, 16, v7
	v_and_or_b32 v3, v6, s10, v3
	v_lshl_or_b32 v1, v3, 16, v1
	s_waitcnt lgkmcnt(0)
	v_lshrrev_b32_e32 v3, 16, v10
	v_mul_f16_sdwa v6, v120, v3 dst_sel:DWORD dst_unused:UNUSED_PAD src0_sel:WORD_1 src1_sel:DWORD
	v_fma_f16 v6, v120, v10, v6
	v_cvt_f32_f16_e32 v6, v6
	global_store_dword v[4:5], v1, off
	v_mul_f16_sdwa v10, v120, v10 dst_sel:DWORD dst_unused:UNUSED_PAD src0_sel:WORD_1 src1_sel:DWORD
	v_fma_f16 v3, v120, v3, -v10
	v_cvt_f64_f32_e32 v[6:7], v6
	v_mul_f64 v[6:7], v[6:7], s[2:3]
	v_and_or_b32 v1, v7, s6, v6
	v_cmp_ne_u32_e32 vcc, 0, v1
	v_lshrrev_b32_e32 v6, 8, v7
	v_bfe_u32 v8, v7, 20, 11
	v_cndmask_b32_e64 v1, 0, 1, vcc
	v_and_or_b32 v1, v6, s7, v1
	v_sub_u32_e32 v12, 0x3f1, v8
	v_or_b32_e32 v6, 0x1000, v1
	v_med3_i32 v12, v12, 0, 13
	v_lshrrev_b32_e32 v15, v12, v6
	v_lshlrev_b32_e32 v12, v12, v15
	v_cmp_ne_u32_e32 vcc, v12, v6
	v_add_u32_e32 v8, 0xfffffc10, v8
	v_lshl_or_b32 v12, v8, 12, v1
	v_cndmask_b32_e64 v6, 0, 1, vcc
	v_or_b32_e32 v6, v15, v6
	v_cmp_gt_i32_e32 vcc, 1, v8
	v_cvt_f32_f16_e32 v3, v3
	s_nop 0
	v_cndmask_b32_e32 v6, v12, v6, vcc
	v_and_b32_e32 v12, 7, v6
	v_cmp_lt_i32_e32 vcc, 5, v12
	v_cmp_eq_u32_e64 s[0:1], 3, v12
	v_lshrrev_b32_e32 v6, 2, v6
	s_or_b64 vcc, s[0:1], vcc
	v_addc_co_u32_e32 v6, vcc, 0, v6, vcc
	v_cmp_gt_i32_e32 vcc, 31, v8
	s_nop 1
	v_cndmask_b32_e32 v6, v14, v6, vcc
	v_cmp_ne_u32_e32 vcc, 0, v1
	s_nop 1
	v_cndmask_b32_e64 v1, 0, 1, vcc
	v_lshl_or_b32 v1, v1, 9, v14
	v_cmp_eq_u32_e32 vcc, s8, v8
	v_and_b32_sdwa v8, v7, s10 dst_sel:DWORD dst_unused:UNUSED_PAD src0_sel:WORD_1 src1_sel:DWORD
	s_nop 0
	v_cndmask_b32_e32 v1, v6, v1, vcc
	v_cvt_f64_f32_e32 v[6:7], v3
	v_mul_f64 v[6:7], v[6:7], s[2:3]
	v_and_or_b32 v3, v7, s6, v6
	v_cmp_ne_u32_e32 vcc, 0, v3
	v_lshrrev_b32_e32 v6, 8, v7
	v_bfe_u32 v10, v7, 20, 11
	v_cndmask_b32_e64 v3, 0, 1, vcc
	v_and_or_b32 v3, v6, s7, v3
	v_sub_u32_e32 v12, 0x3f1, v10
	v_or_b32_e32 v6, 0x1000, v3
	v_med3_i32 v12, v12, 0, 13
	v_lshrrev_b32_e32 v15, v12, v6
	v_lshlrev_b32_e32 v12, v12, v15
	v_cmp_ne_u32_e32 vcc, v12, v6
	v_add_u32_e32 v10, 0xfffffc10, v10
	v_lshl_or_b32 v12, v10, 12, v3
	v_cndmask_b32_e64 v6, 0, 1, vcc
	v_or_b32_e32 v6, v15, v6
	v_cmp_gt_i32_e32 vcc, 1, v10
	v_bitop3_b32 v1, v8, s9, v1 bitop3:0xc8
	s_nop 0
	v_cndmask_b32_e32 v6, v12, v6, vcc
	v_and_b32_e32 v12, 7, v6
	v_cmp_lt_i32_e32 vcc, 5, v12
	v_cmp_eq_u32_e64 s[0:1], 3, v12
	v_lshrrev_b32_e32 v6, 2, v6
	s_or_b64 vcc, s[0:1], vcc
	v_addc_co_u32_e32 v6, vcc, 0, v6, vcc
	v_cmp_gt_i32_e32 vcc, 31, v10
	s_nop 1
	v_cndmask_b32_e32 v6, v14, v6, vcc
	v_cmp_ne_u32_e32 vcc, 0, v3
	s_nop 1
	v_cndmask_b32_e64 v3, 0, 1, vcc
	v_lshl_or_b32 v3, v3, 9, v14
	v_cmp_eq_u32_e32 vcc, s8, v10
	s_nop 1
	v_cndmask_b32_e32 v3, v6, v3, vcc
	v_lshrrev_b32_e32 v6, 16, v7
	v_and_or_b32 v3, v6, s10, v3
	v_lshl_or_b32 v1, v3, 16, v1
	v_lshrrev_b32_e32 v3, 16, v9
	v_mul_f16_sdwa v6, v118, v3 dst_sel:DWORD dst_unused:UNUSED_PAD src0_sel:WORD_1 src1_sel:DWORD
	v_fma_f16 v6, v118, v9, v6
	v_cvt_f32_f16_e32 v8, v6
	v_mad_u64_u32 v[6:7], s[0:1], s4, v83, v[4:5]
	v_add_u32_e32 v7, s11, v7
	v_cvt_f64_f32_e32 v[4:5], v8
	v_mul_f64 v[4:5], v[4:5], s[2:3]
	global_store_dword v[6:7], v1, off
	v_and_or_b32 v1, v5, s6, v4
	v_cmp_ne_u32_e32 vcc, 0, v1
	v_lshrrev_b32_e32 v4, 8, v5
	v_bfe_u32 v8, v5, 20, 11
	v_cndmask_b32_e64 v1, 0, 1, vcc
	v_and_or_b32 v1, v4, s7, v1
	v_sub_u32_e32 v10, 0x3f1, v8
	v_or_b32_e32 v4, 0x1000, v1
	v_med3_i32 v10, v10, 0, 13
	v_lshrrev_b32_e32 v12, v10, v4
	v_lshlrev_b32_e32 v10, v10, v12
	v_cmp_ne_u32_e32 vcc, v10, v4
	v_add_u32_e32 v8, 0xfffffc10, v8
	v_lshl_or_b32 v10, v8, 12, v1
	v_cndmask_b32_e64 v4, 0, 1, vcc
	v_or_b32_e32 v4, v12, v4
	v_cmp_gt_i32_e32 vcc, 1, v8
	v_mul_f16_sdwa v9, v118, v9 dst_sel:DWORD dst_unused:UNUSED_PAD src0_sel:WORD_1 src1_sel:DWORD
	v_fma_f16 v3, v118, v3, -v9
	v_cndmask_b32_e32 v4, v10, v4, vcc
	v_and_b32_e32 v10, 7, v4
	v_cmp_lt_i32_e32 vcc, 5, v10
	v_cmp_eq_u32_e64 s[0:1], 3, v10
	v_lshrrev_b32_e32 v4, 2, v4
	s_or_b64 vcc, s[0:1], vcc
	v_addc_co_u32_e32 v4, vcc, 0, v4, vcc
	v_cmp_gt_i32_e32 vcc, 31, v8
	v_cvt_f32_f16_e32 v3, v3
	v_and_b32_sdwa v10, v5, s10 dst_sel:DWORD dst_unused:UNUSED_PAD src0_sel:WORD_1 src1_sel:DWORD
	v_cndmask_b32_e32 v4, v14, v4, vcc
	v_cmp_ne_u32_e32 vcc, 0, v1
	s_nop 1
	v_cndmask_b32_e64 v1, 0, 1, vcc
	v_lshl_or_b32 v1, v1, 9, v14
	v_cmp_eq_u32_e32 vcc, s8, v8
	s_nop 1
	v_cndmask_b32_e32 v1, v4, v1, vcc
	v_cvt_f64_f32_e32 v[4:5], v3
	v_mul_f64 v[8:9], v[4:5], s[2:3]
	v_and_or_b32 v3, v9, s6, v8
	v_cmp_ne_u32_e32 vcc, 0, v3
	v_lshrrev_b32_e32 v4, 8, v9
	v_bfe_u32 v5, v9, 20, 11
	v_cndmask_b32_e64 v3, 0, 1, vcc
	v_and_or_b32 v3, v4, s7, v3
	v_sub_u32_e32 v8, 0x3f1, v5
	v_or_b32_e32 v4, 0x1000, v3
	v_med3_i32 v8, v8, 0, 13
	v_lshrrev_b32_e32 v12, v8, v4
	v_lshlrev_b32_e32 v8, v8, v12
	v_cmp_ne_u32_e32 vcc, v8, v4
	v_add_u32_e32 v5, 0xfffffc10, v5
	v_lshl_or_b32 v8, v5, 12, v3
	v_cndmask_b32_e64 v4, 0, 1, vcc
	v_or_b32_e32 v4, v12, v4
	v_cmp_gt_i32_e32 vcc, 1, v5
	v_bitop3_b32 v1, v10, s9, v1 bitop3:0xc8
	s_nop 0
	v_cndmask_b32_e32 v4, v8, v4, vcc
	v_and_b32_e32 v8, 7, v4
	v_cmp_lt_i32_e32 vcc, 5, v8
	v_cmp_eq_u32_e64 s[0:1], 3, v8
	v_lshrrev_b32_e32 v4, 2, v4
	s_or_b64 vcc, s[0:1], vcc
	v_addc_co_u32_e32 v4, vcc, 0, v4, vcc
	v_cmp_gt_i32_e32 vcc, 31, v5
	v_lshrrev_b32_e32 v8, 16, v9
	v_mad_u64_u32 v[6:7], s[0:1], s4, v83, v[6:7]
	v_cndmask_b32_e32 v4, v14, v4, vcc
	v_cmp_ne_u32_e32 vcc, 0, v3
	v_add_u32_e32 v7, s11, v7
	s_nop 0
	v_cndmask_b32_e64 v3, 0, 1, vcc
	v_lshl_or_b32 v3, v3, 9, v14
	v_cmp_eq_u32_e32 vcc, s8, v5
	s_nop 1
	v_cndmask_b32_e32 v3, v4, v3, vcc
	ds_read2_b32 v[4:5], v122 offset0:122 offset1:247
	v_and_or_b32 v3, v8, s10, v3
	v_lshl_or_b32 v1, v3, 16, v1
	global_store_dword v[6:7], v1, off
	s_waitcnt lgkmcnt(0)
	v_lshrrev_b32_e32 v3, 16, v4
	v_mul_f16_sdwa v8, v117, v3 dst_sel:DWORD dst_unused:UNUSED_PAD src0_sel:WORD_1 src1_sel:DWORD
	v_fma_f16 v8, v117, v4, v8
	v_cvt_f32_f16_e32 v8, v8
	v_mul_f16_sdwa v4, v117, v4 dst_sel:DWORD dst_unused:UNUSED_PAD src0_sel:WORD_1 src1_sel:DWORD
	v_fma_f16 v3, v117, v3, -v4
	v_cvt_f32_f16_e32 v3, v3
	v_cvt_f64_f32_e32 v[8:9], v8
	v_mul_f64 v[8:9], v[8:9], s[2:3]
	v_and_or_b32 v1, v9, s6, v8
	v_cmp_ne_u32_e32 vcc, 0, v1
	v_lshrrev_b32_e32 v8, 8, v9
	v_bfe_u32 v10, v9, 20, 11
	v_cndmask_b32_e64 v1, 0, 1, vcc
	v_and_or_b32 v1, v8, s7, v1
	v_sub_u32_e32 v12, 0x3f1, v10
	v_or_b32_e32 v8, 0x1000, v1
	v_med3_i32 v12, v12, 0, 13
	v_lshrrev_b32_e32 v15, v12, v8
	v_lshlrev_b32_e32 v12, v12, v15
	v_cmp_ne_u32_e32 vcc, v12, v8
	v_add_u32_e32 v10, 0xfffffc10, v10
	v_lshl_or_b32 v12, v10, 12, v1
	v_cndmask_b32_e64 v8, 0, 1, vcc
	v_or_b32_e32 v8, v15, v8
	v_cmp_gt_i32_e32 vcc, 1, v10
	v_and_b32_sdwa v4, v9, s10 dst_sel:DWORD dst_unused:UNUSED_PAD src0_sel:WORD_1 src1_sel:DWORD
	s_nop 0
	v_cndmask_b32_e32 v8, v12, v8, vcc
	v_and_b32_e32 v12, 7, v8
	v_cmp_lt_i32_e32 vcc, 5, v12
	v_cmp_eq_u32_e64 s[0:1], 3, v12
	v_lshrrev_b32_e32 v8, 2, v8
	s_or_b64 vcc, s[0:1], vcc
	v_addc_co_u32_e32 v8, vcc, 0, v8, vcc
	v_cmp_gt_i32_e32 vcc, 31, v10
	s_nop 1
	v_cndmask_b32_e32 v8, v14, v8, vcc
	v_cmp_ne_u32_e32 vcc, 0, v1
	s_nop 1
	v_cndmask_b32_e64 v1, 0, 1, vcc
	v_lshl_or_b32 v1, v1, 9, v14
	v_cmp_eq_u32_e32 vcc, s8, v10
	s_nop 1
	v_cndmask_b32_e32 v1, v8, v1, vcc
	v_cvt_f64_f32_e32 v[8:9], v3
	v_mul_f64 v[8:9], v[8:9], s[2:3]
	v_and_or_b32 v3, v9, s6, v8
	v_cmp_ne_u32_e32 vcc, 0, v3
	v_lshrrev_b32_e32 v8, 8, v9
	v_bfe_u32 v10, v9, 20, 11
	v_cndmask_b32_e64 v3, 0, 1, vcc
	v_and_or_b32 v3, v8, s7, v3
	v_sub_u32_e32 v12, 0x3f1, v10
	v_or_b32_e32 v8, 0x1000, v3
	v_med3_i32 v12, v12, 0, 13
	v_lshrrev_b32_e32 v15, v12, v8
	v_lshlrev_b32_e32 v12, v12, v15
	v_cmp_ne_u32_e32 vcc, v12, v8
	v_add_u32_e32 v10, 0xfffffc10, v10
	v_lshl_or_b32 v12, v10, 12, v3
	v_cndmask_b32_e64 v8, 0, 1, vcc
	v_or_b32_e32 v8, v15, v8
	v_cmp_gt_i32_e32 vcc, 1, v10
	v_bitop3_b32 v1, v4, s9, v1 bitop3:0xc8
	s_nop 0
	v_cndmask_b32_e32 v8, v12, v8, vcc
	v_and_b32_e32 v12, 7, v8
	v_cmp_lt_i32_e32 vcc, 5, v12
	v_cmp_eq_u32_e64 s[0:1], 3, v12
	v_lshrrev_b32_e32 v8, 2, v8
	s_or_b64 vcc, s[0:1], vcc
	v_addc_co_u32_e32 v8, vcc, 0, v8, vcc
	v_cmp_gt_i32_e32 vcc, 31, v10
	s_nop 1
	v_cndmask_b32_e32 v8, v14, v8, vcc
	v_cmp_ne_u32_e32 vcc, 0, v3
	s_nop 1
	v_cndmask_b32_e64 v3, 0, 1, vcc
	v_lshl_or_b32 v3, v3, 9, v14
	v_cmp_eq_u32_e32 vcc, s8, v10
	s_nop 1
	v_cndmask_b32_e32 v3, v8, v3, vcc
	v_lshrrev_b32_e32 v8, 16, v9
	v_and_or_b32 v3, v8, s10, v3
	v_lshl_or_b32 v1, v3, 16, v1
	v_lshrrev_b32_e32 v3, 16, v13
	v_mul_f16_sdwa v4, v114, v3 dst_sel:DWORD dst_unused:UNUSED_PAD src0_sel:WORD_1 src1_sel:DWORD
	v_fma_f16 v4, v114, v13, v4
	v_cvt_f32_f16_e32 v4, v4
	v_mad_u64_u32 v[8:9], s[0:1], s4, v100, v[6:7]
	v_add_u32_e32 v9, s5, v9
	v_cvt_f64_f32_e32 v[6:7], v4
	v_mul_f64 v[6:7], v[6:7], s[2:3]
	global_store_dword v[8:9], v1, off
	v_and_or_b32 v1, v7, s6, v6
	v_cmp_ne_u32_e32 vcc, 0, v1
	v_lshrrev_b32_e32 v4, 8, v7
	v_bfe_u32 v6, v7, 20, 11
	v_cndmask_b32_e64 v1, 0, 1, vcc
	v_and_or_b32 v1, v4, s7, v1
	v_sub_u32_e32 v10, 0x3f1, v6
	v_or_b32_e32 v4, 0x1000, v1
	v_med3_i32 v10, v10, 0, 13
	v_lshrrev_b32_e32 v12, v10, v4
	v_lshlrev_b32_e32 v10, v10, v12
	v_cmp_ne_u32_e32 vcc, v10, v4
	v_add_u32_e32 v6, 0xfffffc10, v6
	v_lshl_or_b32 v10, v6, 12, v1
	v_cndmask_b32_e64 v4, 0, 1, vcc
	v_or_b32_e32 v4, v12, v4
	v_cmp_gt_i32_e32 vcc, 1, v6
	s_nop 1
	v_cndmask_b32_e32 v4, v10, v4, vcc
	v_and_b32_e32 v10, 7, v4
	v_cmp_lt_i32_e32 vcc, 5, v10
	v_cmp_eq_u32_e64 s[0:1], 3, v10
	v_lshrrev_b32_e32 v4, 2, v4
	s_or_b64 vcc, s[0:1], vcc
	v_mul_f16_sdwa v10, v114, v13 dst_sel:DWORD dst_unused:UNUSED_PAD src0_sel:WORD_1 src1_sel:DWORD
	v_addc_co_u32_e32 v4, vcc, 0, v4, vcc
	v_fma_f16 v3, v114, v3, -v10
	v_cmp_gt_i32_e32 vcc, 31, v6
	v_cvt_f32_f16_e32 v3, v3
	s_nop 0
	v_cndmask_b32_e32 v4, v14, v4, vcc
	v_cmp_ne_u32_e32 vcc, 0, v1
	s_nop 1
	v_cndmask_b32_e64 v1, 0, 1, vcc
	v_lshl_or_b32 v1, v1, 9, v14
	v_cmp_eq_u32_e32 vcc, s8, v6
	s_nop 1
	v_cndmask_b32_e32 v1, v4, v1, vcc
	v_and_b32_sdwa v4, v7, s10 dst_sel:DWORD dst_unused:UNUSED_PAD src0_sel:WORD_1 src1_sel:DWORD
	v_cvt_f64_f32_e32 v[6:7], v3
	v_mul_f64 v[12:13], v[6:7], s[2:3]
	v_and_or_b32 v3, v13, s6, v12
	v_cmp_ne_u32_e32 vcc, 0, v3
	v_lshrrev_b32_e32 v6, 8, v13
	v_bfe_u32 v7, v13, 20, 11
	v_cndmask_b32_e64 v3, 0, 1, vcc
	v_and_or_b32 v3, v6, s7, v3
	v_sub_u32_e32 v10, 0x3f1, v7
	v_or_b32_e32 v6, 0x1000, v3
	v_med3_i32 v10, v10, 0, 13
	v_lshrrev_b32_e32 v12, v10, v6
	v_lshlrev_b32_e32 v10, v10, v12
	v_cmp_ne_u32_e32 vcc, v10, v6
	v_add_u32_e32 v7, 0xfffffc10, v7
	v_lshl_or_b32 v10, v7, 12, v3
	v_cndmask_b32_e64 v6, 0, 1, vcc
	v_or_b32_e32 v6, v12, v6
	v_cmp_gt_i32_e32 vcc, 1, v7
	v_bitop3_b32 v1, v4, s9, v1 bitop3:0xc8
	s_nop 0
	v_cndmask_b32_e32 v6, v10, v6, vcc
	v_and_b32_e32 v10, 7, v6
	v_cmp_lt_i32_e32 vcc, 5, v10
	v_cmp_eq_u32_e64 s[0:1], 3, v10
	v_lshrrev_b32_e32 v6, 2, v6
	s_or_b64 vcc, s[0:1], vcc
	v_addc_co_u32_e32 v6, vcc, 0, v6, vcc
	v_cmp_gt_i32_e32 vcc, 31, v7
	v_lshrrev_b32_e32 v10, 16, v13
	v_mad_u64_u32 v[8:9], s[0:1], s4, v83, v[8:9]
	v_cndmask_b32_e32 v6, v14, v6, vcc
	v_cmp_ne_u32_e32 vcc, 0, v3
	v_add_u32_e32 v9, s11, v9
	s_nop 0
	v_cndmask_b32_e64 v3, 0, 1, vcc
	v_lshl_or_b32 v3, v3, 9, v14
	v_cmp_eq_u32_e32 vcc, s8, v7
	s_nop 1
	v_cndmask_b32_e32 v3, v6, v3, vcc
	ds_read2_b32 v[6:7], v129 offset0:92 offset1:217
	v_and_or_b32 v3, v10, s10, v3
	v_lshl_or_b32 v1, v3, 16, v1
	global_store_dword v[8:9], v1, off
	s_waitcnt lgkmcnt(0)
	v_lshrrev_b32_e32 v3, 16, v6
	v_mul_f16_sdwa v4, v116, v3 dst_sel:DWORD dst_unused:UNUSED_PAD src0_sel:WORD_1 src1_sel:DWORD
	v_fma_f16 v4, v116, v6, v4
	v_cvt_f32_f16_e32 v4, v4
	v_mul_f16_sdwa v6, v116, v6 dst_sel:DWORD dst_unused:UNUSED_PAD src0_sel:WORD_1 src1_sel:DWORD
	v_fma_f16 v3, v116, v3, -v6
	v_cvt_f32_f16_e32 v3, v3
	v_cvt_f64_f32_e32 v[12:13], v4
	v_mul_f64 v[12:13], v[12:13], s[2:3]
	v_and_or_b32 v1, v13, s6, v12
	v_cmp_ne_u32_e32 vcc, 0, v1
	v_lshrrev_b32_e32 v4, 8, v13
	v_bfe_u32 v10, v13, 20, 11
	v_cndmask_b32_e64 v1, 0, 1, vcc
	v_and_or_b32 v1, v4, s7, v1
	v_sub_u32_e32 v12, 0x3f1, v10
	v_or_b32_e32 v4, 0x1000, v1
	v_med3_i32 v12, v12, 0, 13
	v_lshrrev_b32_e32 v15, v12, v4
	v_lshlrev_b32_e32 v12, v12, v15
	v_cmp_ne_u32_e32 vcc, v12, v4
	v_add_u32_e32 v10, 0xfffffc10, v10
	v_lshl_or_b32 v12, v10, 12, v1
	v_cndmask_b32_e64 v4, 0, 1, vcc
	v_or_b32_e32 v4, v15, v4
	v_cmp_gt_i32_e32 vcc, 1, v10
	s_nop 1
	v_cndmask_b32_e32 v4, v12, v4, vcc
	v_and_b32_e32 v12, 7, v4
	v_cmp_lt_i32_e32 vcc, 5, v12
	v_cmp_eq_u32_e64 s[0:1], 3, v12
	v_lshrrev_b32_e32 v4, 2, v4
	s_or_b64 vcc, s[0:1], vcc
	v_addc_co_u32_e32 v4, vcc, 0, v4, vcc
	v_cmp_gt_i32_e32 vcc, 31, v10
	s_nop 1
	v_cndmask_b32_e32 v4, v14, v4, vcc
	v_cmp_ne_u32_e32 vcc, 0, v1
	s_nop 1
	v_cndmask_b32_e64 v1, 0, 1, vcc
	v_lshl_or_b32 v1, v1, 9, v14
	v_cmp_eq_u32_e32 vcc, s8, v10
	s_nop 1
	v_cndmask_b32_e32 v1, v4, v1, vcc
	v_and_b32_sdwa v4, v13, s10 dst_sel:DWORD dst_unused:UNUSED_PAD src0_sel:WORD_1 src1_sel:DWORD
	v_cvt_f64_f32_e32 v[12:13], v3
	v_mul_f64 v[12:13], v[12:13], s[2:3]
	v_and_or_b32 v3, v13, s6, v12
	v_cmp_ne_u32_e32 vcc, 0, v3
	v_lshrrev_b32_e32 v6, 8, v13
	v_bfe_u32 v10, v13, 20, 11
	v_cndmask_b32_e64 v3, 0, 1, vcc
	v_and_or_b32 v3, v6, s7, v3
	v_sub_u32_e32 v12, 0x3f1, v10
	v_or_b32_e32 v6, 0x1000, v3
	v_med3_i32 v12, v12, 0, 13
	v_lshrrev_b32_e32 v15, v12, v6
	v_lshlrev_b32_e32 v12, v12, v15
	v_cmp_ne_u32_e32 vcc, v12, v6
	v_add_u32_e32 v10, 0xfffffc10, v10
	v_lshl_or_b32 v12, v10, 12, v3
	v_cndmask_b32_e64 v6, 0, 1, vcc
	v_or_b32_e32 v6, v15, v6
	v_cmp_gt_i32_e32 vcc, 1, v10
	v_bitop3_b32 v1, v4, s9, v1 bitop3:0xc8
	s_nop 0
	v_cndmask_b32_e32 v6, v12, v6, vcc
	v_and_b32_e32 v12, 7, v6
	v_cmp_lt_i32_e32 vcc, 5, v12
	v_cmp_eq_u32_e64 s[0:1], 3, v12
	v_lshrrev_b32_e32 v6, 2, v6
	s_or_b64 vcc, s[0:1], vcc
	v_addc_co_u32_e32 v6, vcc, 0, v6, vcc
	v_cmp_gt_i32_e32 vcc, 31, v10
	s_nop 1
	v_cndmask_b32_e32 v6, v14, v6, vcc
	v_cmp_ne_u32_e32 vcc, 0, v3
	s_nop 1
	v_cndmask_b32_e64 v3, 0, 1, vcc
	v_lshl_or_b32 v3, v3, 9, v14
	v_cmp_eq_u32_e32 vcc, s8, v10
	s_nop 1
	v_cndmask_b32_e32 v3, v6, v3, vcc
	v_lshrrev_b32_e32 v6, 16, v13
	v_and_or_b32 v3, v6, s10, v3
	v_lshl_or_b32 v1, v3, 16, v1
	v_lshrrev_b32_e32 v3, 16, v11
	v_mul_f16_sdwa v4, v115, v3 dst_sel:DWORD dst_unused:UNUSED_PAD src0_sel:WORD_1 src1_sel:DWORD
	v_fma_f16 v4, v115, v11, v4
	v_cvt_f32_f16_e32 v4, v4
	v_mad_u64_u32 v[12:13], s[0:1], s4, v83, v[8:9]
	v_add_u32_e32 v13, s11, v13
	v_cvt_f64_f32_e32 v[8:9], v4
	v_mul_f64 v[8:9], v[8:9], s[2:3]
	global_store_dword v[12:13], v1, off
	v_and_or_b32 v1, v9, s6, v8
	v_cmp_ne_u32_e32 vcc, 0, v1
	v_lshrrev_b32_e32 v4, 8, v9
	v_bfe_u32 v6, v9, 20, 11
	v_cndmask_b32_e64 v1, 0, 1, vcc
	v_and_or_b32 v1, v4, s7, v1
	v_sub_u32_e32 v8, 0x3f1, v6
	v_or_b32_e32 v4, 0x1000, v1
	v_med3_i32 v8, v8, 0, 13
	v_lshrrev_b32_e32 v10, v8, v4
	v_lshlrev_b32_e32 v8, v8, v10
	v_cmp_ne_u32_e32 vcc, v8, v4
	v_add_u32_e32 v6, 0xfffffc10, v6
	v_lshl_or_b32 v8, v6, 12, v1
	v_cndmask_b32_e64 v4, 0, 1, vcc
	v_or_b32_e32 v4, v10, v4
	v_cmp_gt_i32_e32 vcc, 1, v6
	s_nop 1
	v_cndmask_b32_e32 v4, v8, v4, vcc
	v_and_b32_e32 v8, 7, v4
	v_cmp_lt_i32_e32 vcc, 5, v8
	v_cmp_eq_u32_e64 s[0:1], 3, v8
	v_lshrrev_b32_e32 v4, 2, v4
	s_or_b64 vcc, s[0:1], vcc
	v_mul_f16_sdwa v8, v115, v11 dst_sel:DWORD dst_unused:UNUSED_PAD src0_sel:WORD_1 src1_sel:DWORD
	v_addc_co_u32_e32 v4, vcc, 0, v4, vcc
	v_fma_f16 v3, v115, v3, -v8
	v_cmp_gt_i32_e32 vcc, 31, v6
	v_cvt_f32_f16_e32 v3, v3
	s_nop 0
	v_cndmask_b32_e32 v4, v14, v4, vcc
	v_cmp_ne_u32_e32 vcc, 0, v1
	s_nop 1
	v_cndmask_b32_e64 v1, 0, 1, vcc
	v_lshl_or_b32 v1, v1, 9, v14
	v_cmp_eq_u32_e32 vcc, s8, v6
	s_nop 1
	v_cndmask_b32_e32 v1, v4, v1, vcc
	v_and_b32_sdwa v4, v9, s10 dst_sel:DWORD dst_unused:UNUSED_PAD src0_sel:WORD_1 src1_sel:DWORD
	v_cvt_f64_f32_e32 v[8:9], v3
	v_mul_f64 v[10:11], v[8:9], s[2:3]
	v_and_or_b32 v3, v11, s6, v10
	v_cmp_ne_u32_e32 vcc, 0, v3
	v_lshrrev_b32_e32 v6, 8, v11
	v_bfe_u32 v8, v11, 20, 11
	v_cndmask_b32_e64 v3, 0, 1, vcc
	v_and_or_b32 v3, v6, s7, v3
	v_sub_u32_e32 v9, 0x3f1, v8
	v_or_b32_e32 v6, 0x1000, v3
	v_med3_i32 v9, v9, 0, 13
	v_lshrrev_b32_e32 v10, v9, v6
	v_lshlrev_b32_e32 v9, v9, v10
	v_cmp_ne_u32_e32 vcc, v9, v6
	v_add_u32_e32 v8, 0xfffffc10, v8
	v_lshl_or_b32 v9, v8, 12, v3
	v_cndmask_b32_e64 v6, 0, 1, vcc
	v_or_b32_e32 v6, v10, v6
	v_cmp_gt_i32_e32 vcc, 1, v8
	v_bitop3_b32 v1, v4, s9, v1 bitop3:0xc8
	s_nop 0
	v_cndmask_b32_e32 v6, v9, v6, vcc
	v_and_b32_e32 v9, 7, v6
	v_cmp_lt_i32_e32 vcc, 5, v9
	v_cmp_eq_u32_e64 s[0:1], 3, v9
	v_lshrrev_b32_e32 v6, 2, v6
	s_or_b64 vcc, s[0:1], vcc
	v_addc_co_u32_e32 v6, vcc, 0, v6, vcc
	v_cmp_gt_i32_e32 vcc, 31, v8
	s_nop 1
	v_cndmask_b32_e32 v6, v14, v6, vcc
	v_cmp_ne_u32_e32 vcc, 0, v3
	s_nop 1
	v_cndmask_b32_e64 v3, 0, 1, vcc
	v_cmp_eq_u32_e32 vcc, s8, v8
	ds_read2_b32 v[8:9], v124 offset0:62 offset1:187
	v_lshl_or_b32 v3, v3, 9, v14
	v_cndmask_b32_e32 v3, v6, v3, vcc
	v_lshrrev_b32_e32 v6, 16, v11
	v_and_or_b32 v3, v6, s10, v3
	v_lshl_or_b32 v1, v3, 16, v1
	s_waitcnt lgkmcnt(0)
	v_lshrrev_b32_e32 v3, 16, v8
	v_mul_f16_sdwa v4, v112, v3 dst_sel:DWORD dst_unused:UNUSED_PAD src0_sel:WORD_1 src1_sel:DWORD
	v_fma_f16 v4, v112, v8, v4
	v_cvt_f32_f16_e32 v4, v4
	v_mad_u64_u32 v[10:11], s[0:1], s4, v83, v[12:13]
	v_add_u32_e32 v11, s11, v11
	v_cvt_f64_f32_e32 v[12:13], v4
	v_mul_f64 v[12:13], v[12:13], s[2:3]
	global_store_dword v[10:11], v1, off
	v_and_or_b32 v1, v13, s6, v12
	v_cmp_ne_u32_e32 vcc, 0, v1
	v_lshrrev_b32_e32 v4, 8, v13
	v_bfe_u32 v6, v13, 20, 11
	v_cndmask_b32_e64 v1, 0, 1, vcc
	v_and_or_b32 v1, v4, s7, v1
	v_sub_u32_e32 v12, 0x3f1, v6
	v_or_b32_e32 v4, 0x1000, v1
	v_med3_i32 v12, v12, 0, 13
	v_lshrrev_b32_e32 v15, v12, v4
	v_lshlrev_b32_e32 v12, v12, v15
	v_cmp_ne_u32_e32 vcc, v12, v4
	v_add_u32_e32 v6, 0xfffffc10, v6
	v_lshl_or_b32 v12, v6, 12, v1
	v_cndmask_b32_e64 v4, 0, 1, vcc
	v_or_b32_e32 v4, v15, v4
	v_cmp_gt_i32_e32 vcc, 1, v6
	v_mul_f16_sdwa v8, v112, v8 dst_sel:DWORD dst_unused:UNUSED_PAD src0_sel:WORD_1 src1_sel:DWORD
	v_fma_f16 v3, v112, v3, -v8
	v_cndmask_b32_e32 v4, v12, v4, vcc
	v_and_b32_e32 v12, 7, v4
	v_cmp_lt_i32_e32 vcc, 5, v12
	v_cmp_eq_u32_e64 s[0:1], 3, v12
	v_lshrrev_b32_e32 v4, 2, v4
	s_or_b64 vcc, s[0:1], vcc
	v_addc_co_u32_e32 v4, vcc, 0, v4, vcc
	v_cmp_gt_i32_e32 vcc, 31, v6
	v_cvt_f32_f16_e32 v3, v3
	s_nop 0
	v_cndmask_b32_e32 v4, v14, v4, vcc
	v_cmp_ne_u32_e32 vcc, 0, v1
	s_nop 1
	v_cndmask_b32_e64 v1, 0, 1, vcc
	v_lshl_or_b32 v1, v1, 9, v14
	v_cmp_eq_u32_e32 vcc, s8, v6
	s_nop 1
	v_cndmask_b32_e32 v1, v4, v1, vcc
	v_and_b32_sdwa v4, v13, s10 dst_sel:DWORD dst_unused:UNUSED_PAD src0_sel:WORD_1 src1_sel:DWORD
	v_cvt_f64_f32_e32 v[12:13], v3
	v_mul_f64 v[12:13], v[12:13], s[2:3]
	v_and_or_b32 v3, v13, s6, v12
	v_cmp_ne_u32_e32 vcc, 0, v3
	v_lshrrev_b32_e32 v6, 8, v13
	v_bfe_u32 v8, v13, 20, 11
	v_cndmask_b32_e64 v3, 0, 1, vcc
	v_and_or_b32 v3, v6, s7, v3
	v_sub_u32_e32 v12, 0x3f1, v8
	v_or_b32_e32 v6, 0x1000, v3
	v_med3_i32 v12, v12, 0, 13
	v_lshrrev_b32_e32 v15, v12, v6
	v_lshlrev_b32_e32 v12, v12, v15
	v_cmp_ne_u32_e32 vcc, v12, v6
	v_add_u32_e32 v8, 0xfffffc10, v8
	v_lshl_or_b32 v12, v8, 12, v3
	v_cndmask_b32_e64 v6, 0, 1, vcc
	v_or_b32_e32 v6, v15, v6
	v_cmp_gt_i32_e32 vcc, 1, v8
	v_bitop3_b32 v1, v4, s9, v1 bitop3:0xc8
	s_nop 0
	v_cndmask_b32_e32 v6, v12, v6, vcc
	v_and_b32_e32 v12, 7, v6
	v_cmp_lt_i32_e32 vcc, 5, v12
	v_cmp_eq_u32_e64 s[0:1], 3, v12
	v_lshrrev_b32_e32 v6, 2, v6
	s_or_b64 vcc, s[0:1], vcc
	v_addc_co_u32_e32 v6, vcc, 0, v6, vcc
	v_cmp_gt_i32_e32 vcc, 31, v8
	v_mad_u64_u32 v[10:11], s[0:1], s4, v83, v[10:11]
	s_nop 0
	v_cndmask_b32_e32 v6, v14, v6, vcc
	v_cmp_ne_u32_e32 vcc, 0, v3
	v_add_u32_e32 v11, s11, v11
	s_nop 0
	v_cndmask_b32_e64 v3, 0, 1, vcc
	v_lshl_or_b32 v3, v3, 9, v14
	v_cmp_eq_u32_e32 vcc, s8, v8
	s_nop 1
	v_cndmask_b32_e32 v3, v6, v3, vcc
	v_lshrrev_b32_e32 v6, 16, v13
	v_and_or_b32 v3, v6, s10, v3
	v_lshl_or_b32 v1, v3, 16, v1
	v_lshrrev_b32_e32 v3, 16, v5
	v_mul_f16_sdwa v4, v109, v3 dst_sel:DWORD dst_unused:UNUSED_PAD src0_sel:WORD_1 src1_sel:DWORD
	v_fma_f16 v4, v109, v5, v4
	v_cvt_f32_f16_e32 v4, v4
	global_store_dword v[10:11], v1, off
	v_mul_f16_sdwa v5, v109, v5 dst_sel:DWORD dst_unused:UNUSED_PAD src0_sel:WORD_1 src1_sel:DWORD
	v_fma_f16 v3, v109, v3, -v5
	v_cvt_f64_f32_e32 v[12:13], v4
	v_mul_f64 v[12:13], v[12:13], s[2:3]
	v_and_or_b32 v1, v13, s6, v12
	v_cmp_ne_u32_e32 vcc, 0, v1
	v_lshrrev_b32_e32 v4, 8, v13
	v_bfe_u32 v6, v13, 20, 11
	v_cndmask_b32_e64 v1, 0, 1, vcc
	v_and_or_b32 v1, v4, s7, v1
	v_sub_u32_e32 v8, 0x3f1, v6
	v_or_b32_e32 v4, 0x1000, v1
	v_med3_i32 v8, v8, 0, 13
	v_lshrrev_b32_e32 v12, v8, v4
	v_lshlrev_b32_e32 v8, v8, v12
	v_cmp_ne_u32_e32 vcc, v8, v4
	v_add_u32_e32 v6, 0xfffffc10, v6
	v_lshl_or_b32 v8, v6, 12, v1
	v_cndmask_b32_e64 v4, 0, 1, vcc
	v_or_b32_e32 v4, v12, v4
	v_cmp_gt_i32_e32 vcc, 1, v6
	v_cvt_f32_f16_e32 v3, v3
	s_nop 0
	v_cndmask_b32_e32 v4, v8, v4, vcc
	v_and_b32_e32 v8, 7, v4
	v_cmp_lt_i32_e32 vcc, 5, v8
	v_cmp_eq_u32_e64 s[0:1], 3, v8
	v_lshrrev_b32_e32 v4, 2, v4
	s_or_b64 vcc, s[0:1], vcc
	v_addc_co_u32_e32 v4, vcc, 0, v4, vcc
	v_cmp_gt_i32_e32 vcc, 31, v6
	s_nop 1
	v_cndmask_b32_e32 v4, v14, v4, vcc
	v_cmp_ne_u32_e32 vcc, 0, v1
	s_nop 1
	v_cndmask_b32_e64 v1, 0, 1, vcc
	v_lshl_or_b32 v1, v1, 9, v14
	v_cmp_eq_u32_e32 vcc, s8, v6
	v_and_b32_sdwa v6, v13, s10 dst_sel:DWORD dst_unused:UNUSED_PAD src0_sel:WORD_1 src1_sel:DWORD
	s_nop 0
	v_cndmask_b32_e32 v1, v4, v1, vcc
	v_cvt_f64_f32_e32 v[4:5], v3
	v_mul_f64 v[12:13], v[4:5], s[2:3]
	v_and_or_b32 v3, v13, s6, v12
	v_cmp_ne_u32_e32 vcc, 0, v3
	v_lshrrev_b32_e32 v4, 8, v13
	v_bfe_u32 v5, v13, 20, 11
	v_cndmask_b32_e64 v3, 0, 1, vcc
	v_and_or_b32 v3, v4, s7, v3
	v_sub_u32_e32 v8, 0x3f1, v5
	v_or_b32_e32 v4, 0x1000, v3
	v_med3_i32 v8, v8, 0, 13
	v_lshrrev_b32_e32 v12, v8, v4
	v_lshlrev_b32_e32 v8, v8, v12
	v_cmp_ne_u32_e32 vcc, v8, v4
	v_add_u32_e32 v5, 0xfffffc10, v5
	v_lshl_or_b32 v8, v5, 12, v3
	v_cndmask_b32_e64 v4, 0, 1, vcc
	v_or_b32_e32 v4, v12, v4
	v_cmp_gt_i32_e32 vcc, 1, v5
	v_bitop3_b32 v1, v6, s9, v1 bitop3:0xc8
	s_nop 0
	v_cndmask_b32_e32 v4, v8, v4, vcc
	v_and_b32_e32 v8, 7, v4
	v_cmp_lt_i32_e32 vcc, 5, v8
	v_cmp_eq_u32_e64 s[0:1], 3, v8
	v_lshrrev_b32_e32 v4, 2, v4
	s_or_b64 vcc, s[0:1], vcc
	v_addc_co_u32_e32 v4, vcc, 0, v4, vcc
	v_cmp_gt_i32_e32 vcc, 31, v5
	v_lshrrev_b32_e32 v8, 16, v13
	v_mad_u64_u32 v[10:11], s[0:1], s4, v100, v[10:11]
	v_cndmask_b32_e32 v4, v14, v4, vcc
	v_cmp_ne_u32_e32 vcc, 0, v3
	v_add_u32_e32 v11, s5, v11
	s_nop 0
	v_cndmask_b32_e64 v3, 0, 1, vcc
	v_lshl_or_b32 v3, v3, 9, v14
	v_cmp_eq_u32_e32 vcc, s8, v5
	s_nop 1
	v_cndmask_b32_e32 v3, v4, v3, vcc
	ds_read2_b32 v[4:5], v113 offset0:104 offset1:229
	v_and_or_b32 v3, v8, s10, v3
	v_lshl_or_b32 v1, v3, 16, v1
	global_store_dword v[10:11], v1, off
	s_waitcnt lgkmcnt(0)
	v_lshrrev_b32_e32 v3, 16, v4
	v_mul_f16_sdwa v6, v111, v3 dst_sel:DWORD dst_unused:UNUSED_PAD src0_sel:WORD_1 src1_sel:DWORD
	v_fma_f16 v6, v111, v4, v6
	v_cvt_f32_f16_e32 v6, v6
	v_mul_f16_sdwa v4, v111, v4 dst_sel:DWORD dst_unused:UNUSED_PAD src0_sel:WORD_1 src1_sel:DWORD
	v_fma_f16 v3, v111, v3, -v4
	v_cvt_f32_f16_e32 v3, v3
	v_cvt_f64_f32_e32 v[12:13], v6
	v_mul_f64 v[12:13], v[12:13], s[2:3]
	v_and_or_b32 v1, v13, s6, v12
	v_cmp_ne_u32_e32 vcc, 0, v1
	v_lshrrev_b32_e32 v6, 8, v13
	v_bfe_u32 v8, v13, 20, 11
	v_cndmask_b32_e64 v1, 0, 1, vcc
	v_and_or_b32 v1, v6, s7, v1
	v_sub_u32_e32 v12, 0x3f1, v8
	v_or_b32_e32 v6, 0x1000, v1
	v_med3_i32 v12, v12, 0, 13
	v_lshrrev_b32_e32 v15, v12, v6
	v_lshlrev_b32_e32 v12, v12, v15
	v_cmp_ne_u32_e32 vcc, v12, v6
	v_add_u32_e32 v8, 0xfffffc10, v8
	v_lshl_or_b32 v12, v8, 12, v1
	v_cndmask_b32_e64 v6, 0, 1, vcc
	v_or_b32_e32 v6, v15, v6
	v_cmp_gt_i32_e32 vcc, 1, v8
	v_and_b32_sdwa v4, v13, s10 dst_sel:DWORD dst_unused:UNUSED_PAD src0_sel:WORD_1 src1_sel:DWORD
	s_nop 0
	v_cndmask_b32_e32 v6, v12, v6, vcc
	v_and_b32_e32 v12, 7, v6
	v_cmp_lt_i32_e32 vcc, 5, v12
	v_cmp_eq_u32_e64 s[0:1], 3, v12
	v_lshrrev_b32_e32 v6, 2, v6
	s_or_b64 vcc, s[0:1], vcc
	v_addc_co_u32_e32 v6, vcc, 0, v6, vcc
	v_cmp_gt_i32_e32 vcc, 31, v8
	v_cvt_f64_f32_e32 v[12:13], v3
	v_mul_f64 v[12:13], v[12:13], s[2:3]
	v_cndmask_b32_e32 v6, v14, v6, vcc
	v_cmp_ne_u32_e32 vcc, 0, v1
	v_and_or_b32 v3, v13, s6, v12
	s_nop 0
	v_cndmask_b32_e64 v1, 0, 1, vcc
	v_lshl_or_b32 v1, v1, 9, v14
	v_cmp_eq_u32_e32 vcc, s8, v8
	v_bfe_u32 v8, v13, 20, 11
	v_sub_u32_e32 v12, 0x3f1, v8
	v_cndmask_b32_e32 v1, v6, v1, vcc
	v_cmp_ne_u32_e32 vcc, 0, v3
	v_lshrrev_b32_e32 v6, 8, v13
	v_med3_i32 v12, v12, 0, 13
	v_cndmask_b32_e64 v3, 0, 1, vcc
	v_and_or_b32 v3, v6, s7, v3
	v_or_b32_e32 v6, 0x1000, v3
	v_lshrrev_b32_e32 v15, v12, v6
	v_lshlrev_b32_e32 v12, v12, v15
	v_cmp_ne_u32_e32 vcc, v12, v6
	v_add_u32_e32 v8, 0xfffffc10, v8
	v_lshl_or_b32 v12, v8, 12, v3
	v_cndmask_b32_e64 v6, 0, 1, vcc
	v_or_b32_e32 v6, v15, v6
	v_cmp_gt_i32_e32 vcc, 1, v8
	v_bitop3_b32 v1, v4, s9, v1 bitop3:0xc8
	s_nop 0
	v_cndmask_b32_e32 v6, v12, v6, vcc
	v_and_b32_e32 v12, 7, v6
	v_cmp_lt_i32_e32 vcc, 5, v12
	v_cmp_eq_u32_e64 s[0:1], 3, v12
	v_lshrrev_b32_e32 v6, 2, v6
	s_or_b64 vcc, s[0:1], vcc
	v_addc_co_u32_e32 v6, vcc, 0, v6, vcc
	v_cmp_gt_i32_e32 vcc, 31, v8
	v_mad_u64_u32 v[10:11], s[0:1], s4, v83, v[10:11]
	s_nop 0
	v_cndmask_b32_e32 v6, v14, v6, vcc
	v_cmp_ne_u32_e32 vcc, 0, v3
	v_add_u32_e32 v11, s11, v11
	s_nop 0
	v_cndmask_b32_e64 v3, 0, 1, vcc
	v_lshl_or_b32 v3, v3, 9, v14
	v_cmp_eq_u32_e32 vcc, s8, v8
	s_nop 1
	v_cndmask_b32_e32 v3, v6, v3, vcc
	v_lshrrev_b32_e32 v6, 16, v13
	v_and_or_b32 v3, v6, s10, v3
	v_lshl_or_b32 v1, v3, 16, v1
	v_lshrrev_b32_e32 v3, 16, v7
	v_mul_f16_sdwa v4, v108, v3 dst_sel:DWORD dst_unused:UNUSED_PAD src0_sel:WORD_1 src1_sel:DWORD
	v_fma_f16 v4, v108, v7, v4
	v_cvt_f32_f16_e32 v4, v4
	global_store_dword v[10:11], v1, off
	v_mul_f16_sdwa v7, v108, v7 dst_sel:DWORD dst_unused:UNUSED_PAD src0_sel:WORD_1 src1_sel:DWORD
	v_fma_f16 v3, v108, v3, -v7
	v_cvt_f64_f32_e32 v[12:13], v4
	v_mul_f64 v[12:13], v[12:13], s[2:3]
	v_and_or_b32 v1, v13, s6, v12
	v_cmp_ne_u32_e32 vcc, 0, v1
	v_lshrrev_b32_e32 v4, 8, v13
	v_bfe_u32 v6, v13, 20, 11
	v_cndmask_b32_e64 v1, 0, 1, vcc
	v_and_or_b32 v1, v4, s7, v1
	v_sub_u32_e32 v8, 0x3f1, v6
	v_or_b32_e32 v4, 0x1000, v1
	v_med3_i32 v8, v8, 0, 13
	v_lshrrev_b32_e32 v12, v8, v4
	v_lshlrev_b32_e32 v8, v8, v12
	v_cmp_ne_u32_e32 vcc, v8, v4
	v_add_u32_e32 v6, 0xfffffc10, v6
	v_lshl_or_b32 v8, v6, 12, v1
	v_cndmask_b32_e64 v4, 0, 1, vcc
	v_or_b32_e32 v4, v12, v4
	v_cmp_gt_i32_e32 vcc, 1, v6
	v_cvt_f32_f16_e32 v3, v3
	s_nop 0
	v_cndmask_b32_e32 v4, v8, v4, vcc
	v_and_b32_e32 v8, 7, v4
	v_cmp_lt_i32_e32 vcc, 5, v8
	v_cmp_eq_u32_e64 s[0:1], 3, v8
	v_lshrrev_b32_e32 v4, 2, v4
	s_or_b64 vcc, s[0:1], vcc
	v_addc_co_u32_e32 v4, vcc, 0, v4, vcc
	v_cmp_gt_i32_e32 vcc, 31, v6
	s_nop 1
	v_cndmask_b32_e32 v4, v14, v4, vcc
	v_cmp_ne_u32_e32 vcc, 0, v1
	s_nop 1
	v_cndmask_b32_e64 v1, 0, 1, vcc
	v_lshl_or_b32 v1, v1, 9, v14
	v_cmp_eq_u32_e32 vcc, s8, v6
	v_cvt_f64_f32_e32 v[6:7], v3
	s_nop 0
	v_cndmask_b32_e32 v1, v4, v1, vcc
	v_and_b32_sdwa v4, v13, s10 dst_sel:DWORD dst_unused:UNUSED_PAD src0_sel:WORD_1 src1_sel:DWORD
	v_mul_f64 v[12:13], v[6:7], s[2:3]
	v_and_or_b32 v3, v13, s6, v12
	v_cmp_ne_u32_e32 vcc, 0, v3
	v_lshrrev_b32_e32 v6, 8, v13
	v_bfe_u32 v7, v13, 20, 11
	v_cndmask_b32_e64 v3, 0, 1, vcc
	v_and_or_b32 v3, v6, s7, v3
	v_sub_u32_e32 v8, 0x3f1, v7
	v_or_b32_e32 v6, 0x1000, v3
	v_med3_i32 v8, v8, 0, 13
	v_lshrrev_b32_e32 v12, v8, v6
	v_lshlrev_b32_e32 v8, v8, v12
	v_cmp_ne_u32_e32 vcc, v8, v6
	v_add_u32_e32 v7, 0xfffffc10, v7
	v_lshl_or_b32 v8, v7, 12, v3
	v_cndmask_b32_e64 v6, 0, 1, vcc
	v_or_b32_e32 v6, v12, v6
	v_cmp_gt_i32_e32 vcc, 1, v7
	v_bitop3_b32 v1, v4, s9, v1 bitop3:0xc8
	s_nop 0
	v_cndmask_b32_e32 v6, v8, v6, vcc
	v_and_b32_e32 v8, 7, v6
	v_cmp_lt_i32_e32 vcc, 5, v8
	v_cmp_eq_u32_e64 s[0:1], 3, v8
	v_lshrrev_b32_e32 v6, 2, v6
	s_or_b64 vcc, s[0:1], vcc
	v_addc_co_u32_e32 v6, vcc, 0, v6, vcc
	v_cmp_gt_i32_e32 vcc, 31, v7
	v_lshrrev_b32_e32 v8, 16, v13
	v_mad_u64_u32 v[10:11], s[0:1], s4, v83, v[10:11]
	v_cndmask_b32_e32 v6, v14, v6, vcc
	v_cmp_ne_u32_e32 vcc, 0, v3
	v_add_u32_e32 v11, s11, v11
	s_nop 0
	v_cndmask_b32_e64 v3, 0, 1, vcc
	v_lshl_or_b32 v3, v3, 9, v14
	v_cmp_eq_u32_e32 vcc, s8, v7
	s_nop 1
	v_cndmask_b32_e32 v3, v6, v3, vcc
	ds_read2_b32 v[6:7], v110 offset0:74 offset1:199
	v_and_or_b32 v3, v8, s10, v3
	v_lshl_or_b32 v1, v3, 16, v1
	global_store_dword v[10:11], v1, off
	s_waitcnt lgkmcnt(0)
	v_lshrrev_b32_e32 v3, 16, v6
	v_mul_f16_sdwa v4, v107, v3 dst_sel:DWORD dst_unused:UNUSED_PAD src0_sel:WORD_1 src1_sel:DWORD
	v_fma_f16 v4, v107, v6, v4
	v_cvt_f32_f16_e32 v4, v4
	v_mul_f16_sdwa v6, v107, v6 dst_sel:DWORD dst_unused:UNUSED_PAD src0_sel:WORD_1 src1_sel:DWORD
	v_fma_f16 v3, v107, v3, -v6
	v_cvt_f32_f16_e32 v3, v3
	v_cvt_f64_f32_e32 v[12:13], v4
	v_mul_f64 v[12:13], v[12:13], s[2:3]
	v_and_or_b32 v1, v13, s6, v12
	v_cmp_ne_u32_e32 vcc, 0, v1
	v_lshrrev_b32_e32 v4, 8, v13
	v_bfe_u32 v8, v13, 20, 11
	v_cndmask_b32_e64 v1, 0, 1, vcc
	v_and_or_b32 v1, v4, s7, v1
	v_sub_u32_e32 v12, 0x3f1, v8
	v_or_b32_e32 v4, 0x1000, v1
	v_med3_i32 v12, v12, 0, 13
	v_lshrrev_b32_e32 v15, v12, v4
	v_lshlrev_b32_e32 v12, v12, v15
	v_cmp_ne_u32_e32 vcc, v12, v4
	v_add_u32_e32 v8, 0xfffffc10, v8
	v_lshl_or_b32 v12, v8, 12, v1
	v_cndmask_b32_e64 v4, 0, 1, vcc
	v_or_b32_e32 v4, v15, v4
	v_cmp_gt_i32_e32 vcc, 1, v8
	s_nop 1
	v_cndmask_b32_e32 v4, v12, v4, vcc
	v_and_b32_e32 v12, 7, v4
	v_cmp_lt_i32_e32 vcc, 5, v12
	v_cmp_eq_u32_e64 s[0:1], 3, v12
	v_lshrrev_b32_e32 v4, 2, v4
	s_or_b64 vcc, s[0:1], vcc
	v_addc_co_u32_e32 v4, vcc, 0, v4, vcc
	v_cmp_gt_i32_e32 vcc, 31, v8
	s_nop 1
	v_cndmask_b32_e32 v4, v14, v4, vcc
	v_cmp_ne_u32_e32 vcc, 0, v1
	s_nop 1
	v_cndmask_b32_e64 v1, 0, 1, vcc
	v_lshl_or_b32 v1, v1, 9, v14
	v_cmp_eq_u32_e32 vcc, s8, v8
	s_nop 1
	v_cndmask_b32_e32 v1, v4, v1, vcc
	v_and_b32_sdwa v4, v13, s10 dst_sel:DWORD dst_unused:UNUSED_PAD src0_sel:WORD_1 src1_sel:DWORD
	v_cvt_f64_f32_e32 v[12:13], v3
	v_mul_f64 v[12:13], v[12:13], s[2:3]
	v_and_or_b32 v3, v13, s6, v12
	v_cmp_ne_u32_e32 vcc, 0, v3
	v_lshrrev_b32_e32 v6, 8, v13
	v_bfe_u32 v8, v13, 20, 11
	v_cndmask_b32_e64 v3, 0, 1, vcc
	v_and_or_b32 v3, v6, s7, v3
	v_sub_u32_e32 v12, 0x3f1, v8
	v_or_b32_e32 v6, 0x1000, v3
	v_med3_i32 v12, v12, 0, 13
	v_lshrrev_b32_e32 v15, v12, v6
	v_lshlrev_b32_e32 v12, v12, v15
	v_cmp_ne_u32_e32 vcc, v12, v6
	v_add_u32_e32 v8, 0xfffffc10, v8
	v_lshl_or_b32 v12, v8, 12, v3
	v_cndmask_b32_e64 v6, 0, 1, vcc
	v_or_b32_e32 v6, v15, v6
	v_cmp_gt_i32_e32 vcc, 1, v8
	v_bitop3_b32 v1, v4, s9, v1 bitop3:0xc8
	s_nop 0
	v_cndmask_b32_e32 v6, v12, v6, vcc
	v_and_b32_e32 v12, 7, v6
	v_cmp_lt_i32_e32 vcc, 5, v12
	v_cmp_eq_u32_e64 s[0:1], 3, v12
	v_lshrrev_b32_e32 v6, 2, v6
	s_or_b64 vcc, s[0:1], vcc
	v_addc_co_u32_e32 v6, vcc, 0, v6, vcc
	v_cmp_gt_i32_e32 vcc, 31, v8
	v_mad_u64_u32 v[10:11], s[0:1], s4, v83, v[10:11]
	s_nop 0
	v_cndmask_b32_e32 v6, v14, v6, vcc
	v_cmp_ne_u32_e32 vcc, 0, v3
	v_add_u32_e32 v11, s11, v11
	s_nop 0
	v_cndmask_b32_e64 v3, 0, 1, vcc
	v_lshl_or_b32 v3, v3, 9, v14
	v_cmp_eq_u32_e32 vcc, s8, v8
	s_nop 1
	v_cndmask_b32_e32 v3, v6, v3, vcc
	v_lshrrev_b32_e32 v6, 16, v13
	v_and_or_b32 v3, v6, s10, v3
	v_lshl_or_b32 v1, v3, 16, v1
	v_lshrrev_b32_e32 v3, 16, v9
	v_mul_f16_sdwa v4, v106, v3 dst_sel:DWORD dst_unused:UNUSED_PAD src0_sel:WORD_1 src1_sel:DWORD
	v_fma_f16 v4, v106, v9, v4
	v_cvt_f32_f16_e32 v4, v4
	global_store_dword v[10:11], v1, off
	v_cvt_f64_f32_e32 v[12:13], v4
	v_mul_f64 v[12:13], v[12:13], s[2:3]
	v_and_or_b32 v1, v13, s6, v12
	v_cmp_ne_u32_e32 vcc, 0, v1
	v_lshrrev_b32_e32 v4, 8, v13
	v_bfe_u32 v6, v13, 20, 11
	v_cndmask_b32_e64 v1, 0, 1, vcc
	v_and_or_b32 v1, v4, s7, v1
	v_sub_u32_e32 v8, 0x3f1, v6
	v_or_b32_e32 v4, 0x1000, v1
	v_med3_i32 v8, v8, 0, 13
	v_lshrrev_b32_e32 v12, v8, v4
	v_lshlrev_b32_e32 v8, v8, v12
	v_cmp_ne_u32_e32 vcc, v8, v4
	v_add_u32_e32 v6, 0xfffffc10, v6
	v_lshl_or_b32 v8, v6, 12, v1
	v_cndmask_b32_e64 v4, 0, 1, vcc
	v_or_b32_e32 v4, v12, v4
	v_cmp_gt_i32_e32 vcc, 1, v6
	s_nop 1
	v_cndmask_b32_e32 v4, v8, v4, vcc
	v_and_b32_e32 v8, 7, v4
	v_cmp_lt_i32_e32 vcc, 5, v8
	v_cmp_eq_u32_e64 s[0:1], 3, v8
	v_mul_f16_sdwa v8, v106, v9 dst_sel:DWORD dst_unused:UNUSED_PAD src0_sel:WORD_1 src1_sel:DWORD
	v_fma_f16 v3, v106, v3, -v8
	v_cvt_f32_f16_e32 v3, v3
	v_lshrrev_b32_e32 v4, 2, v4
	s_or_b64 vcc, s[0:1], vcc
	v_addc_co_u32_e32 v4, vcc, 0, v4, vcc
	v_cmp_gt_i32_e32 vcc, 31, v6
	v_cvt_f64_f32_e32 v[8:9], v3
	v_mul_f64 v[8:9], v[8:9], s[2:3]
	v_cndmask_b32_e32 v4, v14, v4, vcc
	v_cmp_ne_u32_e32 vcc, 0, v1
	v_and_or_b32 v3, v9, s6, v8
	v_bfe_u32 v8, v9, 20, 11
	v_cndmask_b32_e64 v1, 0, 1, vcc
	v_lshl_or_b32 v1, v1, 9, v14
	v_cmp_eq_u32_e32 vcc, s8, v6
	v_lshrrev_b32_e32 v6, 8, v9
	v_sub_u32_e32 v12, 0x3f1, v8
	v_cndmask_b32_e32 v1, v4, v1, vcc
	v_cmp_ne_u32_e32 vcc, 0, v3
	v_med3_i32 v12, v12, 0, 13
	v_and_b32_sdwa v4, v13, s10 dst_sel:DWORD dst_unused:UNUSED_PAD src0_sel:WORD_1 src1_sel:DWORD
	v_cndmask_b32_e64 v3, 0, 1, vcc
	v_and_or_b32 v3, v6, s7, v3
	v_or_b32_e32 v6, 0x1000, v3
	v_lshrrev_b32_e32 v13, v12, v6
	v_lshlrev_b32_e32 v12, v12, v13
	v_cmp_ne_u32_e32 vcc, v12, v6
	v_add_u32_e32 v8, 0xfffffc10, v8
	v_lshl_or_b32 v12, v8, 12, v3
	v_cndmask_b32_e64 v6, 0, 1, vcc
	v_or_b32_e32 v6, v13, v6
	v_cmp_gt_i32_e32 vcc, 1, v8
	v_bitop3_b32 v1, v4, s9, v1 bitop3:0xc8
	s_nop 0
	v_cndmask_b32_e32 v6, v12, v6, vcc
	v_and_b32_e32 v12, 7, v6
	v_cmp_lt_i32_e32 vcc, 5, v12
	v_cmp_eq_u32_e64 s[0:1], 3, v12
	v_lshrrev_b32_e32 v6, 2, v6
	s_or_b64 vcc, s[0:1], vcc
	v_addc_co_u32_e32 v6, vcc, 0, v6, vcc
	v_cmp_gt_i32_e32 vcc, 31, v8
	s_nop 1
	v_cndmask_b32_e32 v6, v14, v6, vcc
	v_cmp_ne_u32_e32 vcc, 0, v3
	s_nop 1
	v_cndmask_b32_e64 v3, 0, 1, vcc
	v_lshl_or_b32 v3, v3, 9, v14
	v_cmp_eq_u32_e32 vcc, s8, v8
	s_nop 1
	v_cndmask_b32_e32 v3, v6, v3, vcc
	v_lshrrev_b32_e32 v6, 16, v9
	v_and_or_b32 v3, v6, s10, v3
	v_lshl_or_b32 v1, v3, 16, v1
	v_lshrrev_b32_e32 v3, 16, v0
	v_mul_f16_sdwa v4, v105, v3 dst_sel:DWORD dst_unused:UNUSED_PAD src0_sel:WORD_1 src1_sel:DWORD
	v_fma_f16 v4, v105, v0, v4
	v_cvt_f32_f16_e32 v4, v4
	v_mad_u64_u32 v[8:9], s[0:1], s4, v83, v[10:11]
	v_add_u32_e32 v9, s11, v9
	v_cvt_f64_f32_e32 v[10:11], v4
	v_mul_f64 v[10:11], v[10:11], s[2:3]
	global_store_dword v[8:9], v1, off
	v_and_or_b32 v1, v11, s6, v10
	v_cmp_ne_u32_e32 vcc, 0, v1
	v_lshrrev_b32_e32 v4, 8, v11
	v_bfe_u32 v6, v11, 20, 11
	v_cndmask_b32_e64 v1, 0, 1, vcc
	v_and_or_b32 v1, v4, s7, v1
	v_sub_u32_e32 v10, 0x3f1, v6
	v_or_b32_e32 v4, 0x1000, v1
	v_med3_i32 v10, v10, 0, 13
	v_lshrrev_b32_e32 v12, v10, v4
	v_lshlrev_b32_e32 v10, v10, v12
	v_cmp_ne_u32_e32 vcc, v10, v4
	v_add_u32_e32 v6, 0xfffffc10, v6
	v_lshl_or_b32 v10, v6, 12, v1
	v_cndmask_b32_e64 v4, 0, 1, vcc
	v_or_b32_e32 v4, v12, v4
	v_cmp_gt_i32_e32 vcc, 1, v6
	v_mul_f16_sdwa v0, v105, v0 dst_sel:DWORD dst_unused:UNUSED_PAD src0_sel:WORD_1 src1_sel:DWORD
	v_fma_f16 v0, v105, v3, -v0
	v_cndmask_b32_e32 v4, v10, v4, vcc
	v_and_b32_e32 v10, 7, v4
	v_cmp_lt_i32_e32 vcc, 5, v10
	v_cmp_eq_u32_e64 s[0:1], 3, v10
	v_lshrrev_b32_e32 v4, 2, v4
	s_or_b64 vcc, s[0:1], vcc
	v_addc_co_u32_e32 v4, vcc, 0, v4, vcc
	v_cmp_gt_i32_e32 vcc, 31, v6
	v_cvt_f32_f16_e32 v0, v0
	s_nop 0
	v_cndmask_b32_e32 v4, v14, v4, vcc
	v_cmp_ne_u32_e32 vcc, 0, v1
	s_nop 1
	v_cndmask_b32_e64 v1, 0, 1, vcc
	v_lshl_or_b32 v1, v1, 9, v14
	v_cmp_eq_u32_e32 vcc, s8, v6
	s_nop 1
	v_cndmask_b32_e32 v3, v4, v1, vcc
	v_cvt_f64_f32_e32 v[0:1], v0
	v_mul_f64 v[0:1], v[0:1], s[2:3]
	v_and_or_b32 v0, v1, s6, v0
	v_cmp_ne_u32_e32 vcc, 0, v0
	v_lshrrev_b32_e32 v6, 8, v1
	v_bfe_u32 v10, v1, 20, 11
	v_cndmask_b32_e64 v0, 0, 1, vcc
	v_and_b32_sdwa v4, v11, s10 dst_sel:DWORD dst_unused:UNUSED_PAD src0_sel:WORD_1 src1_sel:DWORD
	v_and_or_b32 v0, v6, s7, v0
	v_sub_u32_e32 v11, 0x3f1, v10
	v_or_b32_e32 v6, 0x1000, v0
	v_med3_i32 v11, v11, 0, 13
	v_lshrrev_b32_e32 v12, v11, v6
	v_lshlrev_b32_e32 v11, v11, v12
	v_cmp_ne_u32_e32 vcc, v11, v6
	v_add_u32_e32 v10, 0xfffffc10, v10
	v_lshl_or_b32 v11, v10, 12, v0
	v_cndmask_b32_e64 v6, 0, 1, vcc
	v_or_b32_e32 v6, v12, v6
	v_cmp_gt_i32_e32 vcc, 1, v10
	v_lshrrev_b32_e32 v1, 16, v1
	s_nop 0
	v_cndmask_b32_e32 v6, v11, v6, vcc
	v_and_b32_e32 v11, 7, v6
	v_cmp_lt_i32_e32 vcc, 5, v11
	v_cmp_eq_u32_e64 s[0:1], 3, v11
	v_lshrrev_b32_e32 v6, 2, v6
	s_or_b64 vcc, s[0:1], vcc
	v_addc_co_u32_e32 v6, vcc, 0, v6, vcc
	v_cmp_gt_i32_e32 vcc, 31, v10
	s_nop 1
	v_cndmask_b32_e32 v6, v14, v6, vcc
	v_cmp_ne_u32_e32 vcc, 0, v0
	s_nop 1
	v_cndmask_b32_e64 v0, 0, 1, vcc
	v_lshl_or_b32 v0, v0, 9, v14
	v_cmp_eq_u32_e32 vcc, s8, v10
	s_nop 1
	v_cndmask_b32_e32 v0, v6, v0, vcc
	v_and_or_b32 v0, v1, s10, v0
	v_bitop3_b32 v1, v4, s9, v3 bitop3:0xc8
	v_lshrrev_b32_e32 v4, 16, v5
	v_lshl_or_b32 v3, v0, 16, v1
	v_mul_f16_sdwa v0, v104, v4 dst_sel:DWORD dst_unused:UNUSED_PAD src0_sel:WORD_1 src1_sel:DWORD
	v_fma_f16 v0, v104, v5, v0
	v_cvt_f32_f16_e32 v6, v0
	v_mad_u64_u32 v[0:1], s[0:1], s4, v100, v[8:9]
	v_add_u32_e32 v1, s5, v1
	v_cvt_f64_f32_e32 v[8:9], v6
	v_mul_f64 v[8:9], v[8:9], s[2:3]
	global_store_dword v[0:1], v3, off
	v_and_or_b32 v3, v9, s6, v8
	v_cmp_ne_u32_e32 vcc, 0, v3
	v_lshrrev_b32_e32 v6, 8, v9
	v_bfe_u32 v8, v9, 20, 11
	v_cndmask_b32_e64 v3, 0, 1, vcc
	v_and_or_b32 v3, v6, s7, v3
	v_sub_u32_e32 v10, 0x3f1, v8
	v_or_b32_e32 v6, 0x1000, v3
	v_med3_i32 v10, v10, 0, 13
	v_lshrrev_b32_e32 v11, v10, v6
	v_lshlrev_b32_e32 v10, v10, v11
	v_cmp_ne_u32_e32 vcc, v10, v6
	v_add_u32_e32 v8, 0xfffffc10, v8
	v_lshl_or_b32 v10, v8, 12, v3
	v_cndmask_b32_e64 v6, 0, 1, vcc
	v_or_b32_e32 v6, v11, v6
	v_cmp_gt_i32_e32 vcc, 1, v8
	v_mul_f16_sdwa v5, v104, v5 dst_sel:DWORD dst_unused:UNUSED_PAD src0_sel:WORD_1 src1_sel:DWORD
	v_fma_f16 v4, v104, v4, -v5
	v_cndmask_b32_e32 v6, v10, v6, vcc
	v_and_b32_e32 v10, 7, v6
	v_cmp_lt_i32_e32 vcc, 5, v10
	v_cmp_eq_u32_e64 s[0:1], 3, v10
	v_cvt_f32_f16_e32 v4, v4
	v_lshrrev_b32_e32 v6, 2, v6
	s_or_b64 vcc, s[0:1], vcc
	v_addc_co_u32_e32 v6, vcc, 0, v6, vcc
	v_cmp_gt_i32_e32 vcc, 31, v8
	v_cvt_f64_f32_e32 v[4:5], v4
	v_mul_f64 v[4:5], v[4:5], s[2:3]
	v_cndmask_b32_e32 v6, v14, v6, vcc
	v_cmp_ne_u32_e32 vcc, 0, v3
	v_and_or_b32 v4, v5, s6, v4
	s_nop 0
	v_cndmask_b32_e64 v3, 0, 1, vcc
	v_lshl_or_b32 v3, v3, 9, v14
	v_cmp_eq_u32_e32 vcc, s8, v8
	v_lshrrev_b32_e32 v8, 8, v5
	s_nop 0
	v_cndmask_b32_e32 v3, v6, v3, vcc
	v_cmp_ne_u32_e32 vcc, 0, v4
	v_and_b32_sdwa v6, v9, s10 dst_sel:DWORD dst_unused:UNUSED_PAD src0_sel:WORD_1 src1_sel:DWORD
	v_bfe_u32 v9, v5, 20, 11
	v_cndmask_b32_e64 v4, 0, 1, vcc
	v_and_or_b32 v4, v8, s7, v4
	v_sub_u32_e32 v10, 0x3f1, v9
	v_or_b32_e32 v8, 0x1000, v4
	v_med3_i32 v10, v10, 0, 13
	v_lshrrev_b32_e32 v11, v10, v8
	v_lshlrev_b32_e32 v10, v10, v11
	v_cmp_ne_u32_e32 vcc, v10, v8
	v_add_u32_e32 v9, 0xfffffc10, v9
	v_lshl_or_b32 v10, v9, 12, v4
	v_cndmask_b32_e64 v8, 0, 1, vcc
	v_or_b32_e32 v8, v11, v8
	v_cmp_gt_i32_e32 vcc, 1, v9
	v_lshrrev_b32_e32 v5, 16, v5
	v_bitop3_b32 v3, v6, s9, v3 bitop3:0xc8
	v_cndmask_b32_e32 v8, v10, v8, vcc
	v_and_b32_e32 v10, 7, v8
	v_cmp_lt_i32_e32 vcc, 5, v10
	v_cmp_eq_u32_e64 s[0:1], 3, v10
	v_lshrrev_b32_e32 v8, 2, v8
	s_or_b64 vcc, s[0:1], vcc
	v_addc_co_u32_e32 v8, vcc, 0, v8, vcc
	v_cmp_gt_i32_e32 vcc, 31, v9
	v_lshrrev_b32_e32 v6, 16, v2
	v_mad_u64_u32 v[0:1], s[0:1], s4, v83, v[0:1]
	v_cndmask_b32_e32 v8, v14, v8, vcc
	v_cmp_ne_u32_e32 vcc, 0, v4
	v_add_u32_e32 v1, s11, v1
	s_nop 0
	v_cndmask_b32_e64 v4, 0, 1, vcc
	v_lshl_or_b32 v4, v4, 9, v14
	v_cmp_eq_u32_e32 vcc, s8, v9
	s_nop 1
	v_cndmask_b32_e32 v4, v8, v4, vcc
	v_and_or_b32 v4, v5, s10, v4
	v_lshl_or_b32 v3, v4, 16, v3
	v_mul_f16_sdwa v4, v103, v6 dst_sel:DWORD dst_unused:UNUSED_PAD src0_sel:WORD_1 src1_sel:DWORD
	v_fma_f16 v4, v103, v2, v4
	v_cvt_f32_f16_e32 v4, v4
	global_store_dword v[0:1], v3, off
	v_mul_f16_sdwa v2, v103, v2 dst_sel:DWORD dst_unused:UNUSED_PAD src0_sel:WORD_1 src1_sel:DWORD
	v_fma_f16 v2, v103, v6, -v2
	v_cvt_f64_f32_e32 v[4:5], v4
	v_mul_f64 v[4:5], v[4:5], s[2:3]
	v_and_or_b32 v3, v5, s6, v4
	v_cmp_ne_u32_e32 vcc, 0, v3
	v_lshrrev_b32_e32 v4, 8, v5
	v_bfe_u32 v8, v5, 20, 11
	v_cndmask_b32_e64 v3, 0, 1, vcc
	v_and_or_b32 v3, v4, s7, v3
	v_sub_u32_e32 v9, 0x3f1, v8
	v_or_b32_e32 v4, 0x1000, v3
	v_med3_i32 v9, v9, 0, 13
	v_lshrrev_b32_e32 v10, v9, v4
	v_lshlrev_b32_e32 v9, v9, v10
	v_cmp_ne_u32_e32 vcc, v9, v4
	v_add_u32_e32 v8, 0xfffffc10, v8
	v_lshl_or_b32 v9, v8, 12, v3
	v_cndmask_b32_e64 v4, 0, 1, vcc
	v_or_b32_e32 v4, v10, v4
	v_cmp_gt_i32_e32 vcc, 1, v8
	v_cvt_f32_f16_e32 v2, v2
	v_and_b32_sdwa v5, v5, s10 dst_sel:DWORD dst_unused:UNUSED_PAD src0_sel:WORD_1 src1_sel:DWORD
	v_cndmask_b32_e32 v4, v9, v4, vcc
	v_and_b32_e32 v9, 7, v4
	v_cmp_lt_i32_e32 vcc, 5, v9
	v_cmp_eq_u32_e64 s[0:1], 3, v9
	v_lshrrev_b32_e32 v4, 2, v4
	s_or_b64 vcc, s[0:1], vcc
	v_addc_co_u32_e32 v4, vcc, 0, v4, vcc
	v_cmp_gt_i32_e32 vcc, 31, v8
	s_nop 1
	v_cndmask_b32_e32 v4, v14, v4, vcc
	v_cmp_ne_u32_e32 vcc, 0, v3
	s_nop 1
	v_cndmask_b32_e64 v3, 0, 1, vcc
	v_lshl_or_b32 v3, v3, 9, v14
	v_cmp_eq_u32_e32 vcc, s8, v8
	s_nop 1
	v_cndmask_b32_e32 v4, v4, v3, vcc
	v_cvt_f64_f32_e32 v[2:3], v2
	v_mul_f64 v[2:3], v[2:3], s[2:3]
	v_and_or_b32 v2, v3, s6, v2
	v_cmp_ne_u32_e32 vcc, 0, v2
	v_lshrrev_b32_e32 v6, 8, v3
	v_bfe_u32 v8, v3, 20, 11
	v_cndmask_b32_e64 v2, 0, 1, vcc
	v_and_or_b32 v2, v6, s7, v2
	v_sub_u32_e32 v9, 0x3f1, v8
	v_or_b32_e32 v6, 0x1000, v2
	v_med3_i32 v9, v9, 0, 13
	v_lshrrev_b32_e32 v10, v9, v6
	v_lshlrev_b32_e32 v9, v9, v10
	v_cmp_ne_u32_e32 vcc, v9, v6
	v_add_u32_e32 v8, 0xfffffc10, v8
	v_lshl_or_b32 v9, v8, 12, v2
	v_cndmask_b32_e64 v6, 0, 1, vcc
	v_or_b32_e32 v6, v10, v6
	v_cmp_gt_i32_e32 vcc, 1, v8
	v_lshrrev_b32_e32 v3, 16, v3
	s_nop 0
	v_cndmask_b32_e32 v6, v9, v6, vcc
	v_and_b32_e32 v9, 7, v6
	v_cmp_lt_i32_e32 vcc, 5, v9
	v_cmp_eq_u32_e64 s[0:1], 3, v9
	v_lshrrev_b32_e32 v6, 2, v6
	s_or_b64 vcc, s[0:1], vcc
	v_addc_co_u32_e32 v6, vcc, 0, v6, vcc
	v_cmp_gt_i32_e32 vcc, 31, v8
	v_mad_u64_u32 v[0:1], s[0:1], s4, v83, v[0:1]
	s_nop 0
	v_cndmask_b32_e32 v6, v14, v6, vcc
	v_cmp_ne_u32_e32 vcc, 0, v2
	v_add_u32_e32 v1, s11, v1
	s_nop 0
	v_cndmask_b32_e64 v2, 0, 1, vcc
	v_lshl_or_b32 v2, v2, 9, v14
	v_cmp_eq_u32_e32 vcc, s8, v8
	s_nop 1
	v_cndmask_b32_e32 v2, v6, v2, vcc
	v_and_or_b32 v2, v3, s10, v2
	v_bitop3_b32 v3, v5, s9, v4 bitop3:0xc8
	v_lshrrev_b32_e32 v4, 16, v7
	v_lshl_or_b32 v2, v2, 16, v3
	v_mul_f16_sdwa v3, v102, v4 dst_sel:DWORD dst_unused:UNUSED_PAD src0_sel:WORD_1 src1_sel:DWORD
	v_fma_f16 v3, v102, v7, v3
	v_cvt_f32_f16_e32 v3, v3
	global_store_dword v[0:1], v2, off
	v_mul_f16_sdwa v7, v102, v7 dst_sel:DWORD dst_unused:UNUSED_PAD src0_sel:WORD_1 src1_sel:DWORD
	v_fma_f16 v4, v102, v4, -v7
	v_cvt_f64_f32_e32 v[2:3], v3
	v_mul_f64 v[2:3], v[2:3], s[2:3]
	v_and_or_b32 v2, v3, s6, v2
	v_cmp_ne_u32_e32 vcc, 0, v2
	v_lshrrev_b32_e32 v5, 8, v3
	v_bfe_u32 v6, v3, 20, 11
	v_cndmask_b32_e64 v2, 0, 1, vcc
	v_and_or_b32 v2, v5, s7, v2
	v_sub_u32_e32 v8, 0x3f1, v6
	v_or_b32_e32 v5, 0x1000, v2
	v_med3_i32 v8, v8, 0, 13
	v_lshrrev_b32_e32 v9, v8, v5
	v_lshlrev_b32_e32 v8, v8, v9
	v_cmp_ne_u32_e32 vcc, v8, v5
	v_add_u32_e32 v6, 0xfffffc10, v6
	v_lshl_or_b32 v8, v6, 12, v2
	v_cndmask_b32_e64 v5, 0, 1, vcc
	v_or_b32_e32 v5, v9, v5
	v_cmp_gt_i32_e32 vcc, 1, v6
	v_cvt_f32_f16_e32 v4, v4
	s_nop 0
	v_cndmask_b32_e32 v5, v8, v5, vcc
	v_and_b32_e32 v8, 7, v5
	v_cmp_lt_i32_e32 vcc, 5, v8
	v_cmp_eq_u32_e64 s[0:1], 3, v8
	v_lshrrev_b32_e32 v5, 2, v5
	s_or_b64 vcc, s[0:1], vcc
	v_addc_co_u32_e32 v5, vcc, 0, v5, vcc
	v_cmp_gt_i32_e32 vcc, 31, v6
	s_nop 1
	v_cndmask_b32_e32 v5, v14, v5, vcc
	v_cmp_ne_u32_e32 vcc, 0, v2
	s_nop 1
	v_cndmask_b32_e64 v2, 0, 1, vcc
	v_lshl_or_b32 v2, v2, 9, v14
	v_cmp_eq_u32_e32 vcc, s8, v6
	v_and_b32_sdwa v6, v3, s10 dst_sel:DWORD dst_unused:UNUSED_PAD src0_sel:WORD_1 src1_sel:DWORD
	s_nop 0
	v_cndmask_b32_e32 v5, v5, v2, vcc
	v_cvt_f64_f32_e32 v[2:3], v4
	v_mul_f64 v[2:3], v[2:3], s[2:3]
	v_and_or_b32 v2, v3, s6, v2
	v_cmp_ne_u32_e32 vcc, 0, v2
	v_lshrrev_b32_e32 v4, 8, v3
	v_bfe_u32 v7, v3, 20, 11
	v_cndmask_b32_e64 v2, 0, 1, vcc
	v_and_or_b32 v2, v4, s7, v2
	v_sub_u32_e32 v8, 0x3f1, v7
	v_or_b32_e32 v4, 0x1000, v2
	v_med3_i32 v8, v8, 0, 13
	v_lshrrev_b32_e32 v9, v8, v4
	v_lshlrev_b32_e32 v8, v8, v9
	v_cmp_ne_u32_e32 vcc, v8, v4
	v_add_u32_e32 v7, 0xfffffc10, v7
	v_lshl_or_b32 v8, v7, 12, v2
	v_cndmask_b32_e64 v4, 0, 1, vcc
	v_or_b32_e32 v4, v9, v4
	v_cmp_gt_i32_e32 vcc, 1, v7
	v_lshrrev_b32_e32 v3, 16, v3
	s_nop 0
	v_cndmask_b32_e32 v4, v8, v4, vcc
	v_and_b32_e32 v8, 7, v4
	v_cmp_lt_i32_e32 vcc, 5, v8
	v_cmp_eq_u32_e64 s[0:1], 3, v8
	v_lshrrev_b32_e32 v4, 2, v4
	s_or_b64 vcc, s[0:1], vcc
	v_addc_co_u32_e32 v4, vcc, 0, v4, vcc
	v_cmp_gt_i32_e32 vcc, 31, v7
	v_mad_u64_u32 v[0:1], s[0:1], s4, v83, v[0:1]
	s_nop 0
	v_cndmask_b32_e32 v4, v14, v4, vcc
	v_cmp_ne_u32_e32 vcc, 0, v2
	v_add_u32_e32 v1, s11, v1
	s_nop 0
	v_cndmask_b32_e64 v2, 0, 1, vcc
	v_lshl_or_b32 v2, v2, 9, v14
	v_cmp_eq_u32_e32 vcc, s8, v7
	s_nop 1
	v_cndmask_b32_e32 v2, v4, v2, vcc
	ds_read_b32 v4, v76 offset:12000
	v_and_or_b32 v2, v3, s10, v2
	v_bitop3_b32 v3, v6, s9, v5 bitop3:0xc8
	v_lshl_or_b32 v2, v2, 16, v3
	global_store_dword v[0:1], v2, off
	s_waitcnt lgkmcnt(0)
	v_lshrrev_b32_e32 v5, 16, v4
	v_mul_f16_sdwa v3, v101, v5 dst_sel:DWORD dst_unused:UNUSED_PAD src0_sel:WORD_1 src1_sel:DWORD
	v_fma_f16 v3, v101, v4, v3
	v_cvt_f32_f16_e32 v3, v3
	v_mul_f16_sdwa v4, v101, v4 dst_sel:DWORD dst_unused:UNUSED_PAD src0_sel:WORD_1 src1_sel:DWORD
	v_fma_f16 v4, v101, v5, -v4
	v_cvt_f32_f16_e32 v4, v4
	v_cvt_f64_f32_e32 v[2:3], v3
	v_mul_f64 v[2:3], v[2:3], s[2:3]
	v_and_or_b32 v2, v3, s6, v2
	v_cmp_ne_u32_e32 vcc, 0, v2
	v_lshrrev_b32_e32 v6, 8, v3
	v_bfe_u32 v7, v3, 20, 11
	v_cndmask_b32_e64 v2, 0, 1, vcc
	v_and_or_b32 v2, v6, s7, v2
	v_sub_u32_e32 v8, 0x3f1, v7
	v_or_b32_e32 v6, 0x1000, v2
	v_med3_i32 v8, v8, 0, 13
	v_lshrrev_b32_e32 v9, v8, v6
	v_lshlrev_b32_e32 v8, v8, v9
	v_cmp_ne_u32_e32 vcc, v8, v6
	v_add_u32_e32 v7, 0xfffffc10, v7
	v_lshl_or_b32 v8, v7, 12, v2
	v_cndmask_b32_e64 v6, 0, 1, vcc
	v_or_b32_e32 v6, v9, v6
	v_cmp_gt_i32_e32 vcc, 1, v7
	s_nop 1
	v_cndmask_b32_e32 v6, v8, v6, vcc
	v_and_b32_e32 v8, 7, v6
	v_cmp_lt_i32_e32 vcc, 5, v8
	v_cmp_eq_u32_e64 s[0:1], 3, v8
	v_lshrrev_b32_e32 v6, 2, v6
	s_or_b64 vcc, s[0:1], vcc
	v_addc_co_u32_e32 v6, vcc, 0, v6, vcc
	v_cmp_gt_i32_e32 vcc, 31, v7
	s_nop 1
	v_cndmask_b32_e32 v6, v14, v6, vcc
	v_cmp_ne_u32_e32 vcc, 0, v2
	s_nop 1
	v_cndmask_b32_e64 v2, 0, 1, vcc
	v_lshl_or_b32 v2, v2, 9, v14
	v_cmp_eq_u32_e32 vcc, s8, v7
	s_nop 1
	v_cndmask_b32_e32 v5, v6, v2, vcc
	v_and_b32_sdwa v6, v3, s10 dst_sel:DWORD dst_unused:UNUSED_PAD src0_sel:WORD_1 src1_sel:DWORD
	v_cvt_f64_f32_e32 v[2:3], v4
	v_mul_f64 v[2:3], v[2:3], s[2:3]
	v_and_or_b32 v2, v3, s6, v2
	v_cmp_ne_u32_e32 vcc, 0, v2
	v_lshrrev_b32_e32 v4, 8, v3
	v_bfe_u32 v7, v3, 20, 11
	v_cndmask_b32_e64 v2, 0, 1, vcc
	v_and_or_b32 v2, v4, s7, v2
	v_sub_u32_e32 v8, 0x3f1, v7
	v_or_b32_e32 v4, 0x1000, v2
	v_med3_i32 v8, v8, 0, 13
	v_lshrrev_b32_e32 v9, v8, v4
	v_lshlrev_b32_e32 v8, v8, v9
	v_cmp_ne_u32_e32 vcc, v8, v4
	v_add_u32_e32 v7, 0xfffffc10, v7
	v_lshl_or_b32 v8, v7, 12, v2
	v_cndmask_b32_e64 v4, 0, 1, vcc
	v_or_b32_e32 v4, v9, v4
	v_cmp_gt_i32_e32 vcc, 1, v7
	v_lshrrev_b32_e32 v3, 16, v3
	s_nop 0
	v_cndmask_b32_e32 v4, v8, v4, vcc
	v_and_b32_e32 v8, 7, v4
	v_cmp_lt_i32_e32 vcc, 5, v8
	v_cmp_eq_u32_e64 s[0:1], 3, v8
	v_lshrrev_b32_e32 v4, 2, v4
	s_or_b64 vcc, s[0:1], vcc
	v_addc_co_u32_e32 v4, vcc, 0, v4, vcc
	v_cmp_gt_i32_e32 vcc, 31, v7
	v_mad_u64_u32 v[0:1], s[0:1], s4, v83, v[0:1]
	s_nop 0
	v_cndmask_b32_e32 v4, v14, v4, vcc
	v_cmp_ne_u32_e32 vcc, 0, v2
	v_add_u32_e32 v1, s11, v1
	s_nop 0
	v_cndmask_b32_e64 v2, 0, 1, vcc
	v_lshl_or_b32 v2, v2, 9, v14
	v_cmp_eq_u32_e32 vcc, s8, v7
	s_nop 1
	v_cndmask_b32_e32 v2, v4, v2, vcc
	v_and_or_b32 v2, v3, s10, v2
	v_bitop3_b32 v3, v6, s9, v5 bitop3:0xc8
	v_lshl_or_b32 v2, v2, 16, v3
	global_store_dword v[0:1], v2, off
.LBB0_2:
	s_endpgm
	.section	.rodata,"a",@progbits
	.p2align	6, 0x0
	.amdhsa_kernel bluestein_single_fwd_len3125_dim1_half_op_CI_CI
		.amdhsa_group_segment_fixed_size 12500
		.amdhsa_private_segment_fixed_size 0
		.amdhsa_kernarg_size 104
		.amdhsa_user_sgpr_count 2
		.amdhsa_user_sgpr_dispatch_ptr 0
		.amdhsa_user_sgpr_queue_ptr 0
		.amdhsa_user_sgpr_kernarg_segment_ptr 1
		.amdhsa_user_sgpr_dispatch_id 0
		.amdhsa_user_sgpr_kernarg_preload_length 0
		.amdhsa_user_sgpr_kernarg_preload_offset 0
		.amdhsa_user_sgpr_private_segment_size 0
		.amdhsa_uses_dynamic_stack 0
		.amdhsa_enable_private_segment 0
		.amdhsa_system_sgpr_workgroup_id_x 1
		.amdhsa_system_sgpr_workgroup_id_y 0
		.amdhsa_system_sgpr_workgroup_id_z 0
		.amdhsa_system_sgpr_workgroup_info 0
		.amdhsa_system_vgpr_workitem_id 0
		.amdhsa_next_free_vgpr 195
		.amdhsa_next_free_sgpr 17
		.amdhsa_accum_offset 196
		.amdhsa_reserve_vcc 1
		.amdhsa_float_round_mode_32 0
		.amdhsa_float_round_mode_16_64 0
		.amdhsa_float_denorm_mode_32 3
		.amdhsa_float_denorm_mode_16_64 3
		.amdhsa_dx10_clamp 1
		.amdhsa_ieee_mode 1
		.amdhsa_fp16_overflow 0
		.amdhsa_tg_split 0
		.amdhsa_exception_fp_ieee_invalid_op 0
		.amdhsa_exception_fp_denorm_src 0
		.amdhsa_exception_fp_ieee_div_zero 0
		.amdhsa_exception_fp_ieee_overflow 0
		.amdhsa_exception_fp_ieee_underflow 0
		.amdhsa_exception_fp_ieee_inexact 0
		.amdhsa_exception_int_div_zero 0
	.end_amdhsa_kernel
	.text
.Lfunc_end0:
	.size	bluestein_single_fwd_len3125_dim1_half_op_CI_CI, .Lfunc_end0-bluestein_single_fwd_len3125_dim1_half_op_CI_CI
                                        ; -- End function
	.section	.AMDGPU.csdata,"",@progbits
; Kernel info:
; codeLenInByte = 45428
; NumSgprs: 23
; NumVgprs: 195
; NumAgprs: 0
; TotalNumVgprs: 195
; ScratchSize: 0
; MemoryBound: 0
; FloatMode: 240
; IeeeMode: 1
; LDSByteSize: 12500 bytes/workgroup (compile time only)
; SGPRBlocks: 2
; VGPRBlocks: 24
; NumSGPRsForWavesPerEU: 23
; NumVGPRsForWavesPerEU: 195
; AccumOffset: 196
; Occupancy: 2
; WaveLimiterHint : 1
; COMPUTE_PGM_RSRC2:SCRATCH_EN: 0
; COMPUTE_PGM_RSRC2:USER_SGPR: 2
; COMPUTE_PGM_RSRC2:TRAP_HANDLER: 0
; COMPUTE_PGM_RSRC2:TGID_X_EN: 1
; COMPUTE_PGM_RSRC2:TGID_Y_EN: 0
; COMPUTE_PGM_RSRC2:TGID_Z_EN: 0
; COMPUTE_PGM_RSRC2:TIDIG_COMP_CNT: 0
; COMPUTE_PGM_RSRC3_GFX90A:ACCUM_OFFSET: 48
; COMPUTE_PGM_RSRC3_GFX90A:TG_SPLIT: 0
	.text
	.p2alignl 6, 3212836864
	.fill 256, 4, 3212836864
	.type	__hip_cuid_4e3a747c181232e8,@object ; @__hip_cuid_4e3a747c181232e8
	.section	.bss,"aw",@nobits
	.globl	__hip_cuid_4e3a747c181232e8
__hip_cuid_4e3a747c181232e8:
	.byte	0                               ; 0x0
	.size	__hip_cuid_4e3a747c181232e8, 1

	.ident	"AMD clang version 19.0.0git (https://github.com/RadeonOpenCompute/llvm-project roc-6.4.0 25133 c7fe45cf4b819c5991fe208aaa96edf142730f1d)"
	.section	".note.GNU-stack","",@progbits
	.addrsig
	.addrsig_sym __hip_cuid_4e3a747c181232e8
	.amdgpu_metadata
---
amdhsa.kernels:
  - .agpr_count:     0
    .args:
      - .actual_access:  read_only
        .address_space:  global
        .offset:         0
        .size:           8
        .value_kind:     global_buffer
      - .actual_access:  read_only
        .address_space:  global
        .offset:         8
        .size:           8
        .value_kind:     global_buffer
      - .actual_access:  read_only
        .address_space:  global
        .offset:         16
        .size:           8
        .value_kind:     global_buffer
      - .actual_access:  read_only
        .address_space:  global
        .offset:         24
        .size:           8
        .value_kind:     global_buffer
      - .actual_access:  read_only
        .address_space:  global
        .offset:         32
        .size:           8
        .value_kind:     global_buffer
      - .offset:         40
        .size:           8
        .value_kind:     by_value
      - .address_space:  global
        .offset:         48
        .size:           8
        .value_kind:     global_buffer
      - .address_space:  global
        .offset:         56
        .size:           8
        .value_kind:     global_buffer
      - .address_space:  global
        .offset:         64
        .size:           8
        .value_kind:     global_buffer
      - .address_space:  global
        .offset:         72
        .size:           8
        .value_kind:     global_buffer
      - .offset:         80
        .size:           4
        .value_kind:     by_value
      - .address_space:  global
        .offset:         88
        .size:           8
        .value_kind:     global_buffer
      - .address_space:  global
        .offset:         96
        .size:           8
        .value_kind:     global_buffer
    .group_segment_fixed_size: 12500
    .kernarg_segment_align: 8
    .kernarg_segment_size: 104
    .language:       OpenCL C
    .language_version:
      - 2
      - 0
    .max_flat_workgroup_size: 125
    .name:           bluestein_single_fwd_len3125_dim1_half_op_CI_CI
    .private_segment_fixed_size: 0
    .sgpr_count:     23
    .sgpr_spill_count: 0
    .symbol:         bluestein_single_fwd_len3125_dim1_half_op_CI_CI.kd
    .uniform_work_group_size: 1
    .uses_dynamic_stack: false
    .vgpr_count:     195
    .vgpr_spill_count: 0
    .wavefront_size: 64
amdhsa.target:   amdgcn-amd-amdhsa--gfx950
amdhsa.version:
  - 1
  - 2
...

	.end_amdgpu_metadata
